;; amdgpu-corpus repo=ROCm/rocFFT kind=compiled arch=gfx950 opt=O3
	.text
	.amdgcn_target "amdgcn-amd-amdhsa--gfx950"
	.amdhsa_code_object_version 6
	.protected	bluestein_single_fwd_len768_dim1_half_op_CI_CI ; -- Begin function bluestein_single_fwd_len768_dim1_half_op_CI_CI
	.globl	bluestein_single_fwd_len768_dim1_half_op_CI_CI
	.p2align	8
	.type	bluestein_single_fwd_len768_dim1_half_op_CI_CI,@function
bluestein_single_fwd_len768_dim1_half_op_CI_CI: ; @bluestein_single_fwd_len768_dim1_half_op_CI_CI
; %bb.0:
	s_load_dwordx4 s[12:15], s[0:1], 0x28
	v_mul_u32_u24_e32 v1, 0x556, v0
	v_mov_b32_e32 v17, 0
	v_add_u32_sdwa v20, s2, v1 dst_sel:DWORD dst_unused:UNUSED_PAD src0_sel:DWORD src1_sel:WORD_1
	v_mov_b32_e32 v21, v17
	s_waitcnt lgkmcnt(0)
	v_cmp_gt_u64_e32 vcc, s[12:13], v[20:21]
	s_and_saveexec_b64 s[2:3], vcc
	s_cbranch_execz .LBB0_10
; %bb.1:
	s_load_dwordx4 s[4:7], s[0:1], 0x18
	s_load_dwordx4 s[8:11], s[0:1], 0x0
	v_mov_b32_e32 v2, s14
	v_mov_b32_e32 v3, s15
	;; [unrolled: 1-line block ×3, first 2 shown]
	s_waitcnt lgkmcnt(0)
	s_load_dwordx4 s[12:15], s[4:5], 0x0
	v_mul_lo_u16_sdwa v1, v1, v4 dst_sel:DWORD dst_unused:UNUSED_PAD src0_sel:WORD_1 src1_sel:DWORD
	v_sub_u16_e32 v18, v0, v1
	v_lshlrev_b32_e32 v16, 2, v18
	global_load_dword v54, v16, s[8:9]
	s_waitcnt lgkmcnt(0)
	v_mad_u64_u32 v[0:1], s[2:3], s14, v20, 0
	v_mov_b32_e32 v4, v1
	v_mad_u64_u32 v[4:5], s[2:3], s15, v20, v[4:5]
	v_mov_b32_e32 v1, v4
	v_mad_u64_u32 v[4:5], s[2:3], s12, v18, 0
	v_mov_b32_e32 v6, v5
	v_mad_u64_u32 v[6:7], s[2:3], s13, v18, v[6:7]
	v_mov_b32_e32 v5, v6
	v_lshl_add_u64 v[0:1], v[0:1], 2, v[2:3]
	v_lshl_add_u64 v[2:3], v[4:5], 2, v[0:1]
	global_load_dword v13, v[2:3], off
	v_mov_b32_e32 v15, 0xc0
	v_mad_u64_u32 v[2:3], s[2:3], s12, v15, v[2:3]
	s_mul_i32 s2, s13, 0xc0
	s_nop 0
	v_add_u32_e32 v3, s2, v3
	global_load_dword v19, v[2:3], off
	global_load_dword v53, v16, s[8:9] offset:192
	v_mad_u64_u32 v[2:3], s[4:5], s12, v15, v[2:3]
	v_add_u32_e32 v3, s2, v3
	global_load_dword v22, v[2:3], off
	global_load_dword v51, v16, s[8:9] offset:384
	v_or_b32_e32 v48, 0xc0, v18
	v_mad_u64_u32 v[4:5], s[14:15], s12, v48, 0
	v_mov_b32_e32 v10, v5
	v_mad_u64_u32 v[10:11], s[14:15], s13, v48, v[10:11]
	v_mad_u64_u32 v[2:3], s[14:15], s12, v15, v[2:3]
	v_mov_b32_e32 v5, v10
	v_add_u32_e32 v3, s2, v3
	v_lshl_add_u64 v[4:5], v[4:5], 2, v[0:1]
	v_mov_b32_e32 v21, 0x180
	v_or_b32_e32 v43, 0x180, v18
	s_load_dwordx4 s[4:7], s[6:7], 0x0
	global_load_dword v23, v[2:3], off
	global_load_dword v52, v16, s[8:9] offset:576
	global_load_dword v50, v16, s[8:9] offset:768
	;; [unrolled: 1-line block ×5, first 2 shown]
	global_load_dword v24, v[4:5], off
	s_mul_i32 s3, s13, 0x180
	v_mad_u64_u32 v[6:7], s[14:15], s12, v43, 0
	v_mad_u64_u32 v[2:3], s[14:15], s12, v21, v[2:3]
	v_mov_b32_e32 v12, v7
	v_add_u32_e32 v3, s3, v3
	v_or_b32_e32 v38, 0x240, v18
	v_mad_u64_u32 v[8:9], s[14:15], s12, v38, 0
	v_mov_b32_e32 v14, v9
	v_mad_u64_u32 v[10:11], s[14:15], s13, v38, v[14:15]
	v_mov_b32_e32 v9, v10
	s_load_dwordx2 s[0:1], s[0:1], 0x38
	v_cmp_gt_u16_e32 vcc, 16, v18
	s_waitcnt vmcnt(11)
	v_mad_u64_u32 v[4:5], s[14:15], s13, v43, v[12:13]
	global_load_dword v12, v[2:3], off
	v_mad_u64_u32 v[2:3], s[14:15], s12, v15, v[2:3]
	v_add_u32_e32 v3, s2, v3
	global_load_dword v10, v[2:3], off
	v_mad_u64_u32 v[2:3], s[14:15], s12, v15, v[2:3]
	v_mov_b32_e32 v7, v4
	v_add_u32_e32 v3, s2, v3
	v_lshl_add_u64 v[4:5], v[6:7], 2, v[0:1]
	v_lshl_add_u64 v[0:1], v[8:9], 2, v[0:1]
	global_load_dword v6, v[2:3], off
	global_load_dword v7, v[4:5], off
	;; [unrolled: 1-line block ×3, first 2 shown]
	v_mad_u64_u32 v[0:1], s[14:15], s12, v21, v[2:3]
	v_lshrrev_b32_e32 v2, 16, v13
	global_load_dword v45, v16, s[8:9] offset:1536
	v_mul_f16_sdwa v3, v54, v13 dst_sel:DWORD dst_unused:UNUSED_PAD src0_sel:WORD_1 src1_sel:DWORD
	v_mul_f16_sdwa v4, v54, v2 dst_sel:DWORD dst_unused:UNUSED_PAD src0_sel:WORD_1 src1_sel:DWORD
	v_add_u32_e32 v1, s3, v1
	v_fma_f16 v2, v54, v2, -v3
	v_fma_f16 v3, v54, v13, v4
	v_pack_b32_f16 v2, v3, v2
	global_load_dword v3, v[0:1], off
	global_load_dword v44, v16, s[8:9] offset:1728
	v_mad_u64_u32 v[0:1], s[14:15], s12, v15, v[0:1]
	v_add_u32_e32 v1, s2, v1
	global_load_dword v9, v[0:1], off
	global_load_dword v42, v16, s[8:9] offset:1920
	v_mad_u64_u32 v[0:1], s[14:15], s12, v15, v[0:1]
	v_add_u32_e32 v1, s2, v1
	global_load_dword v13, v[0:1], off
	global_load_dword v41, v16, s[8:9] offset:2112
	s_waitcnt vmcnt(22)
	v_lshrrev_b32_e32 v4, 16, v19
	s_waitcnt vmcnt(21)
	v_mul_f16_sdwa v5, v53, v4 dst_sel:DWORD dst_unused:UNUSED_PAD src0_sel:WORD_1 src1_sel:DWORD
	v_mul_f16_sdwa v11, v53, v19 dst_sel:DWORD dst_unused:UNUSED_PAD src0_sel:WORD_1 src1_sel:DWORD
	v_fma_f16 v5, v53, v19, v5
	v_fma_f16 v4, v53, v4, -v11
	global_load_dword v40, v16, s[8:9] offset:2304
	v_pack_b32_f16 v4, v5, v4
	v_mad_u64_u32 v[0:1], s[14:15], s12, v21, v[0:1]
	ds_write2_b32 v16, v2, v4 offset1:48
	s_waitcnt vmcnt(21)
	v_lshrrev_b32_e32 v2, 16, v22
	s_waitcnt vmcnt(20)
	v_mul_f16_sdwa v5, v51, v22 dst_sel:DWORD dst_unused:UNUSED_PAD src0_sel:WORD_1 src1_sel:DWORD
	v_add_u32_e32 v1, s3, v1
	v_mul_f16_sdwa v4, v51, v2 dst_sel:DWORD dst_unused:UNUSED_PAD src0_sel:WORD_1 src1_sel:DWORD
	v_fma_f16 v2, v51, v2, -v5
	global_load_dword v5, v[0:1], off
	global_load_dword v39, v16, s[8:9] offset:2496
	v_mad_u64_u32 v[0:1], s[14:15], s12, v15, v[0:1]
	v_add_u32_e32 v1, s2, v1
	global_load_dword v14, v[0:1], off
	global_load_dword v21, v16, s[8:9] offset:2688
	v_mad_u64_u32 v[0:1], s[12:13], s12, v15, v[0:1]
	v_add_u32_e32 v1, s2, v1
	global_load_dword v15, v[0:1], off
	global_load_dword v19, v16, s[8:9] offset:2880
	v_fma_f16 v4, v51, v22, v4
	v_pack_b32_f16 v2, v4, v2
	s_waitcnt vmcnt(25)
	v_lshrrev_b32_e32 v4, 16, v23
	s_waitcnt vmcnt(24)
	v_mul_f16_sdwa v11, v52, v4 dst_sel:DWORD dst_unused:UNUSED_PAD src0_sel:WORD_1 src1_sel:DWORD
	v_mul_f16_sdwa v0, v52, v23 dst_sel:DWORD dst_unused:UNUSED_PAD src0_sel:WORD_1 src1_sel:DWORD
	v_fma_f16 v11, v52, v23, v11
	v_fma_f16 v0, v52, v4, -v0
	v_pack_b32_f16 v0, v11, v0
	ds_write2_b32 v16, v2, v0 offset0:96 offset1:144
	s_waitcnt vmcnt(19)
	v_lshrrev_b32_e32 v0, 16, v24
	v_mul_f16_sdwa v1, v50, v0 dst_sel:DWORD dst_unused:UNUSED_PAD src0_sel:WORD_1 src1_sel:DWORD
	v_mul_f16_sdwa v2, v50, v24 dst_sel:DWORD dst_unused:UNUSED_PAD src0_sel:WORD_1 src1_sel:DWORD
	v_fma_f16 v1, v50, v24, v1
	v_fma_f16 v0, v50, v0, -v2
	v_pack_b32_f16 v0, v1, v0
	v_add_u32_e32 v23, 0x400, v16
	v_add_u32_e32 v24, 0x800, v16
	s_mov_b32 s2, 0xb9a8
	s_movk_i32 s3, 0x39a8
	s_mov_b32 s13, 0xb61f
	s_mov_b32 s12, 0xbb64
	s_movk_i32 s14, 0x3b64
	s_movk_i32 s15, 0x361f
	s_waitcnt vmcnt(18)
	v_lshrrev_b32_e32 v1, 16, v12
	v_mul_f16_sdwa v2, v49, v1 dst_sel:DWORD dst_unused:UNUSED_PAD src0_sel:WORD_1 src1_sel:DWORD
	v_mul_f16_sdwa v4, v49, v12 dst_sel:DWORD dst_unused:UNUSED_PAD src0_sel:WORD_1 src1_sel:DWORD
	v_fma_f16 v2, v49, v12, v2
	v_fma_f16 v1, v49, v1, -v4
	v_pack_b32_f16 v1, v2, v1
	ds_write2_b32 v16, v0, v1 offset0:192 offset1:240
	s_waitcnt vmcnt(17)
	v_lshrrev_b32_e32 v0, 16, v10
	v_mul_f16_sdwa v1, v47, v0 dst_sel:DWORD dst_unused:UNUSED_PAD src0_sel:WORD_1 src1_sel:DWORD
	v_mul_f16_sdwa v2, v47, v10 dst_sel:DWORD dst_unused:UNUSED_PAD src0_sel:WORD_1 src1_sel:DWORD
	v_fma_f16 v1, v47, v10, v1
	v_fma_f16 v0, v47, v0, -v2
	v_pack_b32_f16 v0, v1, v0
	s_waitcnt vmcnt(16)
	v_lshrrev_b32_e32 v1, 16, v6
	v_mul_f16_sdwa v2, v46, v1 dst_sel:DWORD dst_unused:UNUSED_PAD src0_sel:WORD_1 src1_sel:DWORD
	v_mul_f16_sdwa v4, v46, v6 dst_sel:DWORD dst_unused:UNUSED_PAD src0_sel:WORD_1 src1_sel:DWORD
	v_fma_f16 v2, v46, v6, v2
	v_fma_f16 v1, v46, v1, -v4
	v_pack_b32_f16 v1, v2, v1
	ds_write2_b32 v23, v0, v1 offset0:32 offset1:80
	s_waitcnt vmcnt(15)
	v_lshrrev_b32_e32 v0, 16, v7
	s_waitcnt vmcnt(13)
	v_mul_f16_sdwa v1, v45, v0 dst_sel:DWORD dst_unused:UNUSED_PAD src0_sel:WORD_1 src1_sel:DWORD
	v_mul_f16_sdwa v2, v45, v7 dst_sel:DWORD dst_unused:UNUSED_PAD src0_sel:WORD_1 src1_sel:DWORD
	v_fma_f16 v1, v45, v7, v1
	v_fma_f16 v0, v45, v0, -v2
	v_pack_b32_f16 v0, v1, v0
	s_waitcnt vmcnt(12)
	v_lshrrev_b32_e32 v1, 16, v3
	s_waitcnt vmcnt(11)
	v_mul_f16_sdwa v2, v44, v1 dst_sel:DWORD dst_unused:UNUSED_PAD src0_sel:WORD_1 src1_sel:DWORD
	v_fma_f16 v2, v44, v3, v2
	v_mul_f16_sdwa v3, v44, v3 dst_sel:DWORD dst_unused:UNUSED_PAD src0_sel:WORD_1 src1_sel:DWORD
	v_fma_f16 v1, v44, v1, -v3
	v_pack_b32_f16 v1, v2, v1
	ds_write2_b32 v23, v0, v1 offset0:128 offset1:176
	s_waitcnt vmcnt(10)
	v_lshrrev_b32_e32 v0, 16, v9
	s_waitcnt vmcnt(9)
	v_mul_f16_sdwa v1, v42, v0 dst_sel:DWORD dst_unused:UNUSED_PAD src0_sel:WORD_1 src1_sel:DWORD
	v_mul_f16_sdwa v2, v42, v9 dst_sel:DWORD dst_unused:UNUSED_PAD src0_sel:WORD_1 src1_sel:DWORD
	v_fma_f16 v1, v42, v9, v1
	v_fma_f16 v0, v42, v0, -v2
	v_pack_b32_f16 v0, v1, v0
	s_waitcnt vmcnt(8)
	v_lshrrev_b32_e32 v1, 16, v13
	s_waitcnt vmcnt(7)
	v_mul_f16_sdwa v2, v41, v1 dst_sel:DWORD dst_unused:UNUSED_PAD src0_sel:WORD_1 src1_sel:DWORD
	v_mul_f16_sdwa v3, v41, v13 dst_sel:DWORD dst_unused:UNUSED_PAD src0_sel:WORD_1 src1_sel:DWORD
	v_fma_f16 v2, v41, v13, v2
	v_fma_f16 v1, v41, v1, -v3
	v_pack_b32_f16 v1, v2, v1
	v_add_u32_e32 v12, 0x600, v16
	ds_write2_b32 v12, v0, v1 offset0:96 offset1:144
	v_lshrrev_b32_e32 v0, 16, v8
	s_waitcnt vmcnt(6)
	v_mul_f16_sdwa v1, v40, v0 dst_sel:DWORD dst_unused:UNUSED_PAD src0_sel:WORD_1 src1_sel:DWORD
	v_mul_f16_sdwa v2, v40, v8 dst_sel:DWORD dst_unused:UNUSED_PAD src0_sel:WORD_1 src1_sel:DWORD
	v_fma_f16 v1, v40, v8, v1
	v_fma_f16 v0, v40, v0, -v2
	v_pack_b32_f16 v0, v1, v0
	s_waitcnt vmcnt(5)
	v_lshrrev_b32_e32 v1, 16, v5
	s_waitcnt vmcnt(4)
	v_mul_f16_sdwa v2, v39, v1 dst_sel:DWORD dst_unused:UNUSED_PAD src0_sel:WORD_1 src1_sel:DWORD
	v_mul_f16_sdwa v3, v39, v5 dst_sel:DWORD dst_unused:UNUSED_PAD src0_sel:WORD_1 src1_sel:DWORD
	v_fma_f16 v2, v39, v5, v2
	v_fma_f16 v1, v39, v1, -v3
	v_pack_b32_f16 v1, v2, v1
	ds_write2_b32 v24, v0, v1 offset0:64 offset1:112
	s_waitcnt vmcnt(3)
	v_lshrrev_b32_e32 v0, 16, v14
	s_waitcnt vmcnt(2)
	v_mul_f16_sdwa v1, v21, v0 dst_sel:DWORD dst_unused:UNUSED_PAD src0_sel:WORD_1 src1_sel:DWORD
	v_mul_f16_sdwa v2, v21, v14 dst_sel:DWORD dst_unused:UNUSED_PAD src0_sel:WORD_1 src1_sel:DWORD
	v_fma_f16 v1, v21, v14, v1
	v_fma_f16 v0, v21, v0, -v2
	v_pack_b32_f16 v0, v1, v0
	s_waitcnt vmcnt(1)
	v_lshrrev_b32_e32 v1, 16, v15
	s_waitcnt vmcnt(0)
	v_mul_f16_sdwa v2, v19, v1 dst_sel:DWORD dst_unused:UNUSED_PAD src0_sel:WORD_1 src1_sel:DWORD
	v_mul_f16_sdwa v3, v19, v15 dst_sel:DWORD dst_unused:UNUSED_PAD src0_sel:WORD_1 src1_sel:DWORD
	v_fma_f16 v2, v19, v15, v2
	v_fma_f16 v1, v19, v1, -v3
	v_pack_b32_f16 v1, v2, v1
	ds_write2_b32 v24, v0, v1 offset0:160 offset1:208
	s_waitcnt lgkmcnt(0)
	; wave barrier
	s_waitcnt lgkmcnt(0)
	ds_read2_b32 v[0:1], v16 offset1:48
	ds_read2_b32 v[2:3], v16 offset0:96 offset1:144
	ds_read2_b32 v[4:5], v16 offset0:192 offset1:240
	;; [unrolled: 1-line block ×7, first 2 shown]
	s_waitcnt lgkmcnt(4)
	v_pk_add_f16 v6, v0, v6 neg_lo:[0,1] neg_hi:[0,1]
	v_pk_add_f16 v7, v1, v7 neg_lo:[0,1] neg_hi:[0,1]
	s_waitcnt lgkmcnt(2)
	v_pk_add_f16 v10, v4, v10 neg_lo:[0,1] neg_hi:[0,1]
	s_waitcnt lgkmcnt(1)
	;; [unrolled: 2-line block ×3, first 2 shown]
	v_pk_add_f16 v14, v8, v14 neg_lo:[0,1] neg_hi:[0,1]
	v_pk_fma_f16 v0, v0, 2.0, v6 op_sel_hi:[1,0,1] neg_lo:[0,0,1] neg_hi:[0,0,1]
	v_pk_fma_f16 v4, v4, 2.0, v10 op_sel_hi:[1,0,1] neg_lo:[0,0,1] neg_hi:[0,0,1]
	;; [unrolled: 1-line block ×4, first 2 shown]
	v_pk_add_f16 v4, v0, v4 neg_lo:[0,1] neg_hi:[0,1]
	v_sub_f16_sdwa v22, v6, v10 dst_sel:DWORD dst_unused:UNUSED_PAD src0_sel:DWORD src1_sel:WORD_1
	v_lshrrev_b32_e32 v25, 16, v6
	v_pk_add_f16 v8, v2, v8 neg_lo:[0,1] neg_hi:[0,1]
	v_sub_f16_sdwa v26, v12, v14 dst_sel:DWORD dst_unused:UNUSED_PAD src0_sel:DWORD src1_sel:WORD_1
	v_lshrrev_b32_e32 v27, 16, v12
	v_pk_fma_f16 v0, v0, 2.0, v4 op_sel_hi:[1,0,1] neg_lo:[0,0,1] neg_hi:[0,0,1]
	v_add_f16_e32 v10, v25, v10
	v_fma_f16 v6, v6, 2.0, -v22
	v_pk_fma_f16 v2, v2, 2.0, v8 op_sel_hi:[1,0,1] neg_lo:[0,0,1] neg_hi:[0,0,1]
	v_add_f16_e32 v14, v27, v14
	v_fma_f16 v12, v12, 2.0, -v26
	v_fma_f16 v25, v25, 2.0, -v10
	v_fma_f16 v27, v27, 2.0, -v14
	v_pk_add_f16 v32, v0, v2 neg_lo:[0,1] neg_hi:[0,1]
	v_fma_f16 v2, v12, s2, v6
	v_pk_add_f16 v13, v3, v13 neg_lo:[0,1] neg_hi:[0,1]
	v_fma_f16 v33, v27, s2, v25
	v_fma_f16 v27, v27, s2, v2
	v_lshrrev_b32_e32 v2, 16, v4
	v_pk_add_f16 v11, v5, v11 neg_lo:[0,1] neg_hi:[0,1]
	v_pk_add_f16 v15, v9, v15 neg_lo:[0,1] neg_hi:[0,1]
	v_lshrrev_b32_e32 v29, 16, v7
	v_lshrrev_b32_e32 v31, 16, v13
	v_fma_f16 v12, v12, s3, v33
	v_sub_f16_sdwa v33, v4, v8 dst_sel:DWORD dst_unused:UNUSED_PAD src0_sel:DWORD src1_sel:WORD_1
	v_add_f16_e32 v8, v2, v8
	v_pk_fma_f16 v5, v5, 2.0, v11 op_sel_hi:[1,0,1] neg_lo:[0,0,1] neg_hi:[0,0,1]
	v_pk_fma_f16 v9, v9, 2.0, v15 op_sel_hi:[1,0,1] neg_lo:[0,0,1] neg_hi:[0,0,1]
	v_sub_f16_sdwa v28, v7, v11 dst_sel:DWORD dst_unused:UNUSED_PAD src0_sel:DWORD src1_sel:WORD_1
	v_add_f16_e32 v11, v29, v11
	v_sub_f16_sdwa v30, v13, v15 dst_sel:DWORD dst_unused:UNUSED_PAD src0_sel:DWORD src1_sel:WORD_1
	v_add_f16_e32 v15, v31, v15
	v_fma_f16 v35, v2, 2.0, -v8
	v_fma_f16 v2, v26, s3, v22
	v_pk_fma_f16 v1, v1, 2.0, v7 op_sel_hi:[1,0,1] neg_lo:[0,0,1] neg_hi:[0,0,1]
	v_pk_fma_f16 v3, v3, 2.0, v13 op_sel_hi:[1,0,1] neg_lo:[0,0,1] neg_hi:[0,0,1]
	v_fma_f16 v7, v7, 2.0, -v28
	v_fma_f16 v29, v29, 2.0, -v11
	;; [unrolled: 1-line block ×5, first 2 shown]
	v_fma_f16 v4, v14, s3, v10
	v_fma_f16 v14, v14, s2, v2
	v_pk_add_f16 v5, v1, v5 neg_lo:[0,1] neg_hi:[0,1]
	v_fma_f16 v36, v26, s3, v4
	v_fma_f16 v4, v22, 2.0, -v14
	v_fma_f16 v2, v13, s2, v7
	v_fma_f16 v22, v31, s2, v29
	v_pk_add_f16 v9, v3, v9 neg_lo:[0,1] neg_hi:[0,1]
	v_fma_f16 v31, v31, s2, v2
	v_fma_f16 v13, v13, s3, v22
	v_lshrrev_b32_e32 v2, 16, v5
	v_pk_fma_f16 v3, v3, 2.0, v9 op_sel_hi:[1,0,1] neg_lo:[0,0,1] neg_hi:[0,0,1]
	v_fma_f16 v26, v29, 2.0, -v13
	v_sub_f16_sdwa v29, v5, v9 dst_sel:DWORD dst_unused:UNUSED_PAD src0_sel:DWORD src1_sel:WORD_1
	v_add_f16_e32 v9, v2, v9
	v_pk_fma_f16 v1, v1, 2.0, v5 op_sel_hi:[1,0,1] neg_lo:[0,0,1] neg_hi:[0,0,1]
	v_fma_f16 v22, v7, 2.0, -v31
	v_fma_f16 v37, v2, 2.0, -v9
	v_fma_f16 v2, v30, s3, v28
	v_fma_f16 v7, v15, s3, v11
	v_pk_add_f16 v3, v1, v3 neg_lo:[0,1] neg_hi:[0,1]
	v_fma_f16 v15, v15, s2, v2
	v_fma_f16 v30, v30, s3, v7
	v_pk_fma_f16 v0, v0, 2.0, v32 op_sel_hi:[1,0,1] neg_lo:[0,0,1] neg_hi:[0,0,1]
	v_fma_f16 v10, v10, 2.0, -v36
	v_pk_fma_f16 v1, v1, 2.0, v3 op_sel_hi:[1,0,1] neg_lo:[0,0,1] neg_hi:[0,0,1]
	v_fma_f16 v7, v28, 2.0, -v15
	v_fma_f16 v11, v11, 2.0, -v30
	v_pk_add_f16 v2, v0, v1 neg_lo:[0,1] neg_hi:[0,1]
	v_fma_f16 v1, v7, s13, v4
	v_fma_f16 v28, v11, s13, v10
	;; [unrolled: 1-line block ×4, first 2 shown]
	v_fma_f16 v6, v6, 2.0, -v27
	v_fma_f16 v4, v4, 2.0, -v1
	v_fma_f16 v7, v10, 2.0, -v11
	v_fma_f16 v25, v25, 2.0, -v12
	v_pack_b32_f16 v7, v4, v7
	v_pk_fma_f16 v4, v0, 2.0, v2 op_sel_hi:[1,0,1] neg_lo:[0,0,1] neg_hi:[0,0,1]
	v_fma_f16 v0, v22, s12, v6
	v_fma_f16 v5, v5, 2.0, -v29
	v_fma_f16 v10, v26, s13, v0
	v_fma_f16 v0, v26, s12, v25
	;; [unrolled: 1-line block ×7, first 2 shown]
	v_lshlrev_b16_e32 v0, 4, v18
	v_lshlrev_b32_e32 v26, 2, v0
	v_fma_f16 v0, v6, 2.0, -v10
	v_fma_f16 v6, v34, 2.0, -v55
	;; [unrolled: 1-line block ×3, first 2 shown]
	v_pack_b32_f16 v6, v6, v22
	v_fma_f16 v22, v31, s15, v27
	v_fma_f16 v34, v13, s12, v22
	;; [unrolled: 1-line block ×7, first 2 shown]
	v_lshrrev_b32_e32 v22, 16, v32
	v_fma_f16 v5, v25, 2.0, -v28
	v_sub_f16_sdwa v25, v32, v3 dst_sel:DWORD dst_unused:UNUSED_PAD src0_sel:DWORD src1_sel:WORD_1
	v_fma_f16 v9, v29, s3, v9
	v_add_f16_e32 v29, v22, v3
	v_fma_f16 v3, v32, 2.0, -v25
	v_fma_f16 v32, v22, 2.0, -v29
	v_pack_b32_f16 v5, v0, v5
	v_fma_f16 v0, v15, s14, v14
	v_fma_f16 v22, v30, s14, v36
	;; [unrolled: 1-line block ×4, first 2 shown]
	v_fma_f16 v27, v27, 2.0, -v34
	v_fma_f16 v12, v12, 2.0, -v13
	;; [unrolled: 1-line block ×6, first 2 shown]
	s_waitcnt lgkmcnt(0)
	; wave barrier
	ds_write_b128 v26, v[4:7]
	v_pack_b32_f16 v7, v14, v15
	v_pack_b32_f16 v6, v33, v8
	;; [unrolled: 1-line block ×4, first 2 shown]
	ds_write_b128 v26, v[4:7] offset:16
	v_pack_b32_f16 v5, v1, v11
	v_pack_b32_f16 v4, v55, v37
	;; [unrolled: 1-line block ×3, first 2 shown]
	ds_write_b128 v26, v[2:5] offset:32
	v_pack_b32_f16 v5, v0, v22
	v_pack_b32_f16 v4, v31, v9
	;; [unrolled: 1-line block ×4, first 2 shown]
	ds_write_b128 v26, v[2:5] offset:48
	s_waitcnt lgkmcnt(0)
	; wave barrier
	s_waitcnt lgkmcnt(0)
	ds_read2_b32 v[6:7], v16 offset1:48
	ds_read2_b32 v[8:9], v24 offset1:48
	ds_read2_b32 v[10:11], v23 offset0:48 offset1:96
	ds_read2_b32 v[4:5], v16 offset0:96 offset1:144
	;; [unrolled: 1-line block ×4, first 2 shown]
	ds_read2st64_b32 v[2:3], v16 offset0:3 offset1:4
	ds_read_b32 v23, v16 offset:2816
                                        ; implicit-def: $vgpr28
                                        ; implicit-def: $vgpr27
                                        ; implicit-def: $vgpr29
	s_and_saveexec_b64 s[2:3], vcc
	s_cbranch_execz .LBB0_3
; %bb.2:
	v_add_u32_e32 v0, 0xc0, v16
	ds_read2st64_b32 v[0:1], v0 offset0:3 offset1:7
	ds_read_b32 v27, v16 offset:3008
	s_waitcnt lgkmcnt(1)
	v_lshrrev_b32_e32 v22, 16, v0
	v_lshrrev_b32_e32 v28, 16, v1
	s_waitcnt lgkmcnt(0)
	v_lshrrev_b32_e32 v29, 16, v27
.LBB0_3:
	s_or_b64 exec, exec, s[2:3]
	v_lshlrev_b32_e32 v24, 3, v18
	v_and_b32_e32 v24, 0x78, v24
	v_and_b32_e32 v30, 15, v18
	global_load_dword v56, v24, s[10:11] offset:2
	global_load_dword v55, v24, s[10:11] offset:4
	global_load_ushort v57, v24, s[10:11] offset:6
	global_load_dword v58, v24, s[10:11]
	v_lshlrev_b32_e32 v24, 3, v30
	global_load_ushort v59, v24, s[10:11]
	s_waitcnt lgkmcnt(1)
	v_lshrrev_b32_e32 v35, 16, v3
	v_lshrrev_b32_e32 v36, 16, v8
	v_lshl_add_u64 v[24:25], s[8:9], 0, v[16:17]
	v_lshrrev_b32_e32 v60, 16, v10
	v_lshrrev_b32_e32 v61, 16, v9
	;; [unrolled: 1-line block ×5, first 2 shown]
	s_movk_i32 s2, 0x3aee
	s_mov_b32 s3, 0xbaee
	v_lshrrev_b32_e32 v37, 16, v7
	v_lshrrev_b32_e32 v62, 16, v4
	v_lshrrev_b32_e32 v66, 16, v14
	v_lshrrev_b32_e32 v67, 16, v13
	v_lshrrev_b32_e32 v65, 16, v5
	v_lshrrev_b32_e32 v68, 16, v15
	s_waitcnt lgkmcnt(0)
	v_lshrrev_b32_e32 v70, 16, v23
	v_lshrrev_b32_e32 v69, 16, v2
	v_add_u32_e32 v31, 48, v18
	s_waitcnt lgkmcnt(0)
	; wave barrier
	v_add_u32_e32 v32, 0x60, v18
	v_add_u32_e32 v33, 0x90, v18
	s_waitcnt vmcnt(4)
	v_lshrrev_b32_e32 v17, 16, v56
	s_waitcnt vmcnt(3)
	v_mul_f16_sdwa v71, v36, v55 dst_sel:DWORD dst_unused:UNUSED_PAD src0_sel:DWORD src1_sel:WORD_1
	v_mul_f16_sdwa v72, v8, v55 dst_sel:DWORD dst_unused:UNUSED_PAD src0_sel:DWORD src1_sel:WORD_1
	s_waitcnt vmcnt(1)
	v_mul_f16_sdwa v87, v3, v58 dst_sel:DWORD dst_unused:UNUSED_PAD src0_sel:DWORD src1_sel:WORD_1
	v_mul_f16_sdwa v88, v35, v58 dst_sel:DWORD dst_unused:UNUSED_PAD src0_sel:DWORD src1_sel:WORD_1
	;; [unrolled: 1-line block ×4, first 2 shown]
	v_mul_f16_e32 v92, v1, v56
	v_mul_f16_e32 v93, v29, v57
	v_mul_f16_e32 v94, v27, v57
	v_fma_f16 v71, v8, v17, -v71
	v_fma_f16 v36, v36, v17, v72
	s_waitcnt vmcnt(0)
	v_fma_f16 v35, v35, v59, v87
	v_fma_f16 v72, v3, v59, -v88
	v_mul_f16_sdwa v74, v10, v58 dst_sel:DWORD dst_unused:UNUSED_PAD src0_sel:DWORD src1_sel:WORD_1
	v_mul_f16_sdwa v76, v9, v55 dst_sel:DWORD dst_unused:UNUSED_PAD src0_sel:DWORD src1_sel:WORD_1
	v_mul_f16_e32 v91, v28, v56
	v_fma_f16 v75, v9, v17, -v75
	v_fma_f16 v10, v10, v59, -v73
	v_fma_f16 v8, v28, v58, v92
	v_fma_f16 v3, v27, v55, -v93
	v_fma_f16 v9, v29, v55, v94
	v_add_f16_e32 v27, v6, v72
	v_add_f16_e32 v28, v72, v71
	v_sub_f16_e32 v29, v35, v36
	v_add_f16_e32 v73, v34, v35
	v_add_f16_e32 v35, v35, v36
	v_fma_f16 v60, v60, v59, v74
	v_fma_f16 v61, v61, v17, v76
	v_add_f16_e32 v27, v27, v71
	v_fma_f16 v6, v28, -0.5, v6
	v_fma_f16 v34, v35, -0.5, v34
	v_sub_f16_e32 v35, v72, v71
	v_add_f16_e32 v71, v10, v75
	v_mul_f16_sdwa v77, v63, v58 dst_sel:DWORD dst_unused:UNUSED_PAD src0_sel:DWORD src1_sel:WORD_1
	v_mul_f16_sdwa v79, v64, v55 dst_sel:DWORD dst_unused:UNUSED_PAD src0_sel:DWORD src1_sel:WORD_1
	v_fma_f16 v28, v29, s2, v6
	v_fma_f16 v6, v29, s3, v6
	v_add_f16_e32 v29, v73, v36
	v_fma_f16 v36, v35, s3, v34
	v_fma_f16 v34, v35, s2, v34
	v_add_f16_e32 v35, v7, v10
	v_fma_f16 v7, v71, -0.5, v7
	v_sub_f16_e32 v71, v60, v61
	v_mul_f16_sdwa v78, v11, v58 dst_sel:DWORD dst_unused:UNUSED_PAD src0_sel:DWORD src1_sel:WORD_1
	v_mul_f16_sdwa v80, v12, v55 dst_sel:DWORD dst_unused:UNUSED_PAD src0_sel:DWORD src1_sel:WORD_1
	v_fma_f16 v11, v11, v59, -v77
	v_fma_f16 v12, v12, v17, -v79
	v_fma_f16 v72, v71, s2, v7
	v_fma_f16 v7, v71, s3, v7
	v_add_f16_e32 v71, v37, v60
	v_add_f16_e32 v60, v60, v61
	v_fma_f16 v63, v63, v59, v78
	v_fma_f16 v64, v64, v17, v80
	v_fma_f16 v37, v60, -0.5, v37
	v_sub_f16_e32 v10, v10, v75
	v_add_f16_e32 v60, v11, v12
	v_fma_f16 v73, v10, s3, v37
	v_fma_f16 v10, v10, s2, v37
	v_add_f16_e32 v37, v4, v11
	v_fma_f16 v4, v60, -0.5, v4
	v_sub_f16_e32 v60, v63, v64
	v_fma_f16 v74, v60, s2, v4
	v_fma_f16 v4, v60, s3, v4
	v_add_f16_e32 v60, v62, v63
	v_mul_f16_sdwa v81, v66, v58 dst_sel:DWORD dst_unused:UNUSED_PAD src0_sel:DWORD src1_sel:WORD_1
	v_add_f16_e32 v35, v35, v75
	v_add_f16_e32 v75, v60, v64
	;; [unrolled: 1-line block ×3, first 2 shown]
	v_mul_f16_sdwa v82, v14, v58 dst_sel:DWORD dst_unused:UNUSED_PAD src0_sel:DWORD src1_sel:WORD_1
	v_mul_f16_sdwa v83, v67, v55 dst_sel:DWORD dst_unused:UNUSED_PAD src0_sel:DWORD src1_sel:WORD_1
	v_fma_f16 v14, v14, v59, -v81
	v_fma_f16 v60, v60, -0.5, v62
	v_sub_f16_e32 v11, v11, v12
	v_mul_f16_sdwa v84, v13, v55 dst_sel:DWORD dst_unused:UNUSED_PAD src0_sel:DWORD src1_sel:WORD_1
	v_fma_f16 v13, v13, v17, -v83
	v_add_f16_e32 v37, v37, v12
	v_fma_f16 v12, v11, s3, v60
	v_fma_f16 v11, v11, s2, v60
	v_add_f16_e32 v60, v5, v14
	v_fma_f16 v66, v66, v59, v82
	v_fma_f16 v67, v67, v17, v84
	v_add_f16_e32 v76, v60, v13
	v_add_f16_e32 v60, v14, v13
	v_fma_f16 v5, v60, -0.5, v5
	v_sub_f16_e32 v60, v66, v67
	v_fma_f16 v77, v60, s2, v5
	v_fma_f16 v5, v60, s3, v5
	v_add_f16_e32 v60, v65, v66
	v_mul_f16_sdwa v85, v68, v58 dst_sel:DWORD dst_unused:UNUSED_PAD src0_sel:DWORD src1_sel:WORD_1
	v_add_f16_e32 v78, v60, v67
	v_add_f16_e32 v60, v66, v67
	v_mul_f16_sdwa v86, v15, v58 dst_sel:DWORD dst_unused:UNUSED_PAD src0_sel:DWORD src1_sel:WORD_1
	v_mul_f16_sdwa v89, v70, v55 dst_sel:DWORD dst_unused:UNUSED_PAD src0_sel:DWORD src1_sel:WORD_1
	v_fma_f16 v15, v15, v59, -v85
	v_fma_f16 v60, v60, -0.5, v65
	v_sub_f16_e32 v13, v14, v13
	v_mul_f16_sdwa v90, v23, v55 dst_sel:DWORD dst_unused:UNUSED_PAD src0_sel:DWORD src1_sel:WORD_1
	v_fma_f16 v23, v23, v17, -v89
	v_fma_f16 v14, v13, s3, v60
	v_fma_f16 v13, v13, s2, v60
	v_add_f16_e32 v60, v2, v15
	v_fma_f16 v68, v68, v59, v86
	v_fma_f16 v70, v70, v17, v90
	v_add_f16_e32 v67, v60, v23
	v_add_f16_e32 v60, v15, v23
	v_fma_f16 v2, v60, -0.5, v2
	v_sub_f16_e32 v60, v68, v70
	v_fma_f16 v79, v60, s2, v2
	v_fma_f16 v2, v60, s3, v2
	v_add_f16_e32 v60, v69, v68
	v_add_f16_e32 v80, v60, v70
	;; [unrolled: 1-line block ×3, first 2 shown]
	v_fma_f16 v1, v1, v58, -v91
	v_fma_f16 v60, v60, -0.5, v69
	v_sub_f16_e32 v15, v15, v23
	v_fma_f16 v68, v15, s3, v60
	v_fma_f16 v69, v15, s2, v60
	v_add_f16_e32 v15, v1, v3
	v_fma_f16 v15, v15, -0.5, v0
	v_sub_f16_e32 v60, v8, v9
	v_fma_f16 v23, v60, s2, v15
	v_fma_f16 v15, v60, s3, v15
	v_add_f16_e32 v60, v8, v9
	v_add_f16_e32 v71, v71, v61
	v_fma_f16 v61, v60, -0.5, v22
	v_sub_f16_e32 v62, v1, v3
	v_fma_f16 v60, v62, s3, v61
	v_fma_f16 v61, v62, s2, v61
	v_lshrrev_b32_e32 v62, 4, v18
	v_mul_u32_u24_e32 v62, 48, v62
	v_or_b32_e32 v62, v62, v30
	v_lshlrev_b32_e32 v62, 2, v62
	v_pack_b32_f16 v6, v6, v34
	ds_write_b32 v62, v6 offset:128
	v_lshrrev_b32_e32 v6, 4, v31
	v_mul_u32_u24_e32 v6, 48, v6
	v_pack_b32_f16 v27, v27, v29
	v_pack_b32_f16 v28, v28, v36
	v_or_b32_e32 v6, v6, v30
	ds_write2_b32 v62, v27, v28 offset1:16
	v_lshlrev_b32_e32 v63, 2, v6
	v_pack_b32_f16 v6, v35, v71
	v_pack_b32_f16 v27, v72, v73
	ds_write2_b32 v63, v6, v27 offset1:16
	v_pack_b32_f16 v6, v7, v10
	ds_write_b32 v63, v6 offset:128
	v_lshrrev_b32_e32 v6, 4, v32
	v_mul_u32_u24_e32 v6, 48, v6
	v_or_b32_e32 v6, v6, v30
	v_lshlrev_b32_e32 v64, 2, v6
	v_pack_b32_f16 v4, v4, v11
	ds_write_b32 v64, v4 offset:128
	v_lshrrev_b32_e32 v4, 4, v33
	v_mul_u32_u24_e32 v4, 48, v4
	v_pack_b32_f16 v6, v37, v75
	v_pack_b32_f16 v7, v74, v12
	v_or_b32_e32 v4, v4, v30
	ds_write2_b32 v64, v6, v7 offset1:16
	v_lshlrev_b32_e32 v65, 2, v4
	v_pack_b32_f16 v4, v76, v78
	v_pack_b32_f16 v6, v77, v14
	ds_write2_b32 v65, v4, v6 offset1:16
	v_pack_b32_f16 v4, v5, v13
	ds_write_b32 v65, v4 offset:128
	v_lshrrev_b32_e32 v4, 4, v48
	v_mul_u32_u24_e32 v4, 48, v4
	v_or_b32_e32 v4, v4, v30
	v_lshlrev_b32_e32 v66, 2, v4
	v_pack_b32_f16 v4, v67, v80
	v_pack_b32_f16 v5, v79, v68
	;; [unrolled: 1-line block ×3, first 2 shown]
	ds_write2_b32 v66, v4, v5 offset1:16
	ds_write_b32 v66, v2 offset:128
	s_and_saveexec_b64 s[2:3], vcc
	s_cbranch_execz .LBB0_5
; %bb.4:
	v_add_f16_e32 v2, v22, v8
	v_add_f16_e32 v0, v0, v1
	;; [unrolled: 1-line block ×4, first 2 shown]
	s_mov_b32 s12, 0x5040100
	v_pack_b32_f16 v0, v0, v2
	v_perm_b32 v1, v60, v23, s12
	v_add_u32_e32 v2, 0x800, v16
	ds_write2_b32 v2, v0, v1 offset0:208 offset1:224
	v_perm_b32 v0, v61, v15, s12
	ds_write_b32 v16, v0 offset:3008
.LBB0_5:
	s_or_b64 exec, exec, s[2:3]
	v_mad_u64_u32 v[28:29], s[2:3], v18, 60, s[10:11]
	s_waitcnt lgkmcnt(0)
	; wave barrier
	s_waitcnt lgkmcnt(0)
	global_load_dwordx4 v[0:3], v[28:29], off offset:128
	global_load_dwordx4 v[4:7], v[28:29], off offset:144
	;; [unrolled: 1-line block ×3, first 2 shown]
	global_load_dwordx3 v[12:14], v[28:29], off offset:176
	v_add_u32_e32 v30, 0x400, v16
	ds_read2_b32 v[28:29], v16 offset1:48
	ds_read2_b32 v[32:33], v16 offset0:96 offset1:144
	ds_read2_b32 v[34:35], v16 offset0:192 offset1:240
	v_add_u32_e32 v22, 0x600, v16
	v_add_u32_e32 v31, 0x800, v16
	ds_read2_b32 v[36:37], v30 offset0:32 offset1:80
	ds_read2_b32 v[68:69], v30 offset0:128 offset1:176
	;; [unrolled: 1-line block ×5, first 2 shown]
	s_waitcnt lgkmcnt(7)
	v_lshrrev_b32_e32 v67, 16, v29
	s_waitcnt lgkmcnt(6)
	v_lshrrev_b32_e32 v76, 16, v32
	;; [unrolled: 2-line block ×5, first 2 shown]
	v_lshrrev_b32_e32 v80, 16, v36
	v_lshrrev_b32_e32 v82, 16, v68
	;; [unrolled: 1-line block ×11, first 2 shown]
	s_mov_b32 s10, 0xb9a8
	s_movk_i32 s11, 0x39a8
	s_mov_b32 s14, 0xbb64
	s_mov_b32 s12, 0xb61f
	s_movk_i32 s13, 0x361f
	s_movk_i32 s15, 0x3b64
	s_add_u32 s2, s8, 0xc00
	s_addc_u32 s3, s9, 0
	s_waitcnt vmcnt(3)
	v_mul_f16_sdwa v90, v67, v0 dst_sel:DWORD dst_unused:UNUSED_PAD src0_sel:DWORD src1_sel:WORD_1
	v_mul_f16_sdwa v91, v29, v0 dst_sel:DWORD dst_unused:UNUSED_PAD src0_sel:DWORD src1_sel:WORD_1
	v_fma_f16 v29, v29, v0, -v90
	s_waitcnt vmcnt(0)
	v_mul_f16_sdwa v90, v87, v12 dst_sel:DWORD dst_unused:UNUSED_PAD src0_sel:DWORD src1_sel:WORD_1
	v_fma_f16 v90, v73, v12, -v90
	v_mul_f16_sdwa v73, v73, v12 dst_sel:DWORD dst_unused:UNUSED_PAD src0_sel:DWORD src1_sel:WORD_1
	v_fma_f16 v73, v87, v12, v73
	v_mul_f16_sdwa v87, v88, v13 dst_sel:DWORD dst_unused:UNUSED_PAD src0_sel:DWORD src1_sel:WORD_1
	v_mul_f16_sdwa v92, v76, v1 dst_sel:DWORD dst_unused:UNUSED_PAD src0_sel:DWORD src1_sel:WORD_1
	;; [unrolled: 1-line block ×13, first 2 shown]
	v_fma_f16 v87, v74, v13, -v87
	v_mul_f16_sdwa v74, v74, v13 dst_sel:DWORD dst_unused:UNUSED_PAD src0_sel:DWORD src1_sel:WORD_1
	v_fma_f16 v32, v32, v1, -v92
	v_fma_f16 v34, v34, v3, -v96
	v_fma_f16 v76, v76, v1, v93
	v_fma_f16 v78, v78, v3, v97
	v_fma_f16 v36, v36, v5, -v100
	v_fma_f16 v80, v80, v5, v101
	v_fma_f16 v68, v68, v7, -v104
	;; [unrolled: 2-line block ×4, first 2 shown]
	v_fma_f16 v86, v86, v11, v113
	v_fma_f16 v74, v88, v13, v74
	v_mul_f16_sdwa v88, v89, v14 dst_sel:DWORD dst_unused:UNUSED_PAD src0_sel:DWORD src1_sel:WORD_1
	v_mul_f16_sdwa v94, v77, v2 dst_sel:DWORD dst_unused:UNUSED_PAD src0_sel:DWORD src1_sel:WORD_1
	;; [unrolled: 1-line block ×11, first 2 shown]
	v_fma_f16 v88, v75, v14, -v88
	v_mul_f16_sdwa v75, v75, v14 dst_sel:DWORD dst_unused:UNUSED_PAD src0_sel:DWORD src1_sel:WORD_1
	v_sub_f16_e32 v68, v28, v68
	v_sub_f16_e32 v82, v27, v82
	;; [unrolled: 1-line block ×8, first 2 shown]
	v_fma_f16 v33, v33, v2, -v94
	v_fma_f16 v35, v35, v4, -v98
	v_fma_f16 v67, v67, v0, v91
	v_fma_f16 v77, v77, v2, v95
	;; [unrolled: 1-line block ×3, first 2 shown]
	v_fma_f16 v37, v37, v6, -v102
	v_fma_f16 v81, v81, v6, v103
	v_fma_f16 v69, v69, v8, -v106
	v_fma_f16 v83, v83, v8, v107
	;; [unrolled: 2-line block ×3, first 2 shown]
	v_fma_f16 v75, v89, v14, v75
	v_fma_f16 v34, v34, 2.0, -v72
	v_fma_f16 v78, v78, 2.0, -v86
	;; [unrolled: 1-line block ×4, first 2 shown]
	v_sub_f16_e32 v86, v68, v86
	v_add_f16_e32 v72, v82, v72
	v_sub_f16_e32 v74, v70, v74
	v_add_f16_e32 v87, v84, v87
	v_fma_f16 v28, v28, 2.0, -v68
	v_fma_f16 v27, v27, 2.0, -v82
	v_fma_f16 v32, v32, 2.0, -v70
	v_fma_f16 v76, v76, 2.0, -v84
	v_sub_f16_e32 v69, v29, v69
	v_sub_f16_e32 v83, v67, v83
	;; [unrolled: 1-line block ×8, first 2 shown]
	v_fma_f16 v68, v68, 2.0, -v86
	v_fma_f16 v82, v82, 2.0, -v72
	;; [unrolled: 1-line block ×8, first 2 shown]
	v_sub_f16_e32 v73, v69, v73
	v_add_f16_e32 v89, v83, v89
	v_sub_f16_e32 v75, v71, v75
	v_add_f16_e32 v88, v85, v88
	v_fma_f16 v90, v70, s10, v68
	v_fma_f16 v91, v84, s10, v82
	v_fma_f16 v29, v29, 2.0, -v69
	v_fma_f16 v67, v67, 2.0, -v83
	;; [unrolled: 1-line block ×8, first 2 shown]
	v_fma_f16 v84, v84, s10, v90
	v_fma_f16 v70, v70, s11, v91
	v_fma_f16 v90, v74, s11, v86
	v_fma_f16 v91, v87, s11, v72
	v_fma_f16 v87, v87, s10, v90
	v_fma_f16 v74, v74, s11, v91
	v_fma_f16 v90, v71, s10, v69
	v_fma_f16 v91, v85, s10, v83
	v_sub_f16_e32 v34, v28, v34
	v_sub_f16_e32 v78, v27, v78
	;; [unrolled: 1-line block ×8, first 2 shown]
	v_fma_f16 v85, v85, s10, v90
	v_fma_f16 v71, v71, s11, v91
	v_fma_f16 v32, v32, 2.0, -v36
	v_fma_f16 v76, v76, 2.0, -v80
	;; [unrolled: 1-line block ×6, first 2 shown]
	v_sub_f16_e32 v80, v34, v80
	v_add_f16_e32 v36, v78, v36
	v_fma_f16 v69, v69, 2.0, -v85
	v_fma_f16 v83, v83, 2.0, -v71
	v_sub_f16_e32 v81, v35, v81
	v_add_f16_e32 v37, v79, v37
	v_fma_f16 v90, v75, s11, v73
	v_fma_f16 v91, v88, s11, v89
	v_fma_f16 v28, v28, 2.0, -v34
	v_fma_f16 v27, v27, 2.0, -v78
	;; [unrolled: 1-line block ×8, first 2 shown]
	v_fma_f16 v88, v88, s10, v90
	v_fma_f16 v75, v75, s11, v91
	;; [unrolled: 1-line block ×4, first 2 shown]
	v_sub_f16_e32 v32, v28, v32
	v_sub_f16_e32 v76, v27, v76
	v_fma_f16 v86, v86, 2.0, -v87
	v_fma_f16 v72, v72, 2.0, -v74
	v_sub_f16_e32 v33, v29, v33
	v_sub_f16_e32 v77, v67, v77
	v_fma_f16 v73, v73, 2.0, -v88
	v_fma_f16 v89, v89, 2.0, -v75
	v_fma_f16 v83, v83, s12, v90
	v_fma_f16 v69, v69, s13, v91
	;; [unrolled: 1-line block ×4, first 2 shown]
	v_fma_f16 v28, v28, 2.0, -v32
	v_fma_f16 v27, v27, 2.0, -v76
	;; [unrolled: 1-line block ×4, first 2 shown]
	v_fma_f16 v79, v79, s10, v90
	v_fma_f16 v35, v35, s11, v91
	;; [unrolled: 1-line block ×4, first 2 shown]
	v_sub_f16_e32 v29, v28, v29
	v_sub_f16_e32 v67, v27, v67
	v_fma_f16 v89, v89, s14, v90
	v_fma_f16 v73, v73, s15, v91
	;; [unrolled: 1-line block ×4, first 2 shown]
	v_fma_f16 v28, v28, 2.0, -v29
	v_fma_f16 v27, v27, 2.0, -v67
	;; [unrolled: 1-line block ×4, first 2 shown]
	v_fma_f16 v71, v71, s14, v90
	v_fma_f16 v85, v85, s15, v91
	;; [unrolled: 1-line block ×4, first 2 shown]
	v_fma_f16 v34, v34, 2.0, -v79
	v_fma_f16 v78, v78, 2.0, -v35
	;; [unrolled: 1-line block ×4, first 2 shown]
	v_sub_f16_e32 v77, v32, v77
	v_add_f16_e32 v33, v76, v33
	v_fma_f16 v37, v37, s10, v90
	v_fma_f16 v81, v81, s11, v91
	;; [unrolled: 1-line block ×4, first 2 shown]
	v_pack_b32_f16 v27, v28, v27
	v_pack_b32_f16 v28, v68, v82
	v_fma_f16 v32, v32, 2.0, -v77
	v_fma_f16 v76, v76, 2.0, -v33
	v_fma_f16 v84, v84, 2.0, -v71
	v_fma_f16 v70, v70, 2.0, -v85
	v_fma_f16 v75, v75, s12, v90
	v_fma_f16 v88, v88, s13, v91
	ds_write2_b32 v16, v27, v28 offset1:48
	v_pack_b32_f16 v27, v34, v78
	v_pack_b32_f16 v28, v86, v72
	v_fma_f16 v80, v80, 2.0, -v37
	v_fma_f16 v36, v36, 2.0, -v81
	;; [unrolled: 1-line block ×4, first 2 shown]
	ds_write2_b32 v16, v27, v28 offset0:96 offset1:144
	v_pack_b32_f16 v27, v32, v76
	v_pack_b32_f16 v28, v84, v70
	ds_write2_b32 v16, v27, v28 offset0:192 offset1:240
	v_pack_b32_f16 v27, v80, v36
	v_pack_b32_f16 v28, v87, v74
	;; [unrolled: 3-line block ×6, first 2 shown]
	ds_write2_b32 v31, v27, v28 offset0:160 offset1:208
	s_waitcnt lgkmcnt(0)
	; wave barrier
	s_waitcnt lgkmcnt(0)
	global_load_dword v27, v[24:25], off offset:3072
	v_lshlrev_b32_e32 v28, 2, v18
	global_load_dword v29, v28, s[2:3] offset:192
	global_load_dword v32, v28, s[2:3] offset:384
	;; [unrolled: 1-line block ×9, first 2 shown]
	ds_read2_b32 v[24:25], v16 offset1:48
	global_load_dword v69, v28, s[2:3] offset:1920
	s_waitcnt lgkmcnt(0)
	v_lshrrev_b32_e32 v70, 16, v24
	s_waitcnt vmcnt(10)
	v_mul_f16_sdwa v71, v70, v27 dst_sel:DWORD dst_unused:UNUSED_PAD src0_sel:DWORD src1_sel:WORD_1
	v_fma_f16 v71, v24, v27, -v71
	v_mul_f16_sdwa v24, v24, v27 dst_sel:DWORD dst_unused:UNUSED_PAD src0_sel:DWORD src1_sel:WORD_1
	v_fma_f16 v24, v70, v27, v24
	global_load_dword v27, v28, s[2:3] offset:2112
	v_lshrrev_b32_e32 v70, 16, v25
	v_pack_b32_f16 v24, v71, v24
	s_waitcnt vmcnt(10)
	v_mul_f16_sdwa v71, v70, v29 dst_sel:DWORD dst_unused:UNUSED_PAD src0_sel:DWORD src1_sel:WORD_1
	v_fma_f16 v71, v25, v29, -v71
	v_mul_f16_sdwa v25, v25, v29 dst_sel:DWORD dst_unused:UNUSED_PAD src0_sel:DWORD src1_sel:WORD_1
	v_fma_f16 v25, v70, v29, v25
	global_load_dword v70, v28, s[2:3] offset:2304
	v_pack_b32_f16 v25, v71, v25
	global_load_dword v71, v28, s[2:3] offset:2496
	ds_write2_b32 v16, v24, v25 offset1:48
	ds_read2_b32 v[24:25], v16 offset0:96 offset1:144
	s_waitcnt lgkmcnt(0)
	v_lshrrev_b32_e32 v29, 16, v24
	s_waitcnt vmcnt(11)
	v_mul_f16_sdwa v72, v29, v32 dst_sel:DWORD dst_unused:UNUSED_PAD src0_sel:DWORD src1_sel:WORD_1
	v_fma_f16 v72, v24, v32, -v72
	v_mul_f16_sdwa v24, v24, v32 dst_sel:DWORD dst_unused:UNUSED_PAD src0_sel:DWORD src1_sel:WORD_1
	v_fma_f16 v24, v29, v32, v24
	v_pack_b32_f16 v29, v72, v24
	global_load_dword v72, v28, s[2:3] offset:2688
	v_lshrrev_b32_e32 v32, 16, v25
	s_waitcnt vmcnt(11)
	v_mul_f16_sdwa v24, v32, v33 dst_sel:DWORD dst_unused:UNUSED_PAD src0_sel:DWORD src1_sel:WORD_1
	v_mul_f16_sdwa v74, v25, v33 dst_sel:DWORD dst_unused:UNUSED_PAD src0_sel:DWORD src1_sel:WORD_1
	v_fma_f16 v73, v25, v33, -v24
	v_fma_f16 v32, v32, v33, v74
	global_load_dword v33, v28, s[2:3] offset:2880
	ds_read2_b32 v[24:25], v16 offset0:192 offset1:240
	v_pack_b32_f16 v28, v73, v32
	ds_write2_b32 v16, v29, v28 offset0:96 offset1:144
	s_waitcnt lgkmcnt(1)
	v_lshrrev_b32_e32 v28, 16, v24
	s_waitcnt vmcnt(11)
	v_mul_f16_sdwa v29, v28, v34 dst_sel:DWORD dst_unused:UNUSED_PAD src0_sel:DWORD src1_sel:WORD_1
	v_fma_f16 v29, v24, v34, -v29
	v_mul_f16_sdwa v24, v24, v34 dst_sel:DWORD dst_unused:UNUSED_PAD src0_sel:DWORD src1_sel:WORD_1
	v_lshrrev_b32_e32 v32, 16, v25
	v_fma_f16 v24, v28, v34, v24
	s_waitcnt vmcnt(10)
	v_mul_f16_sdwa v28, v32, v35 dst_sel:DWORD dst_unused:UNUSED_PAD src0_sel:DWORD src1_sel:WORD_1
	v_pack_b32_f16 v24, v29, v24
	v_fma_f16 v34, v25, v35, -v28
	ds_read2_b32 v[28:29], v30 offset0:32 offset1:80
	v_mul_f16_sdwa v25, v25, v35 dst_sel:DWORD dst_unused:UNUSED_PAD src0_sel:DWORD src1_sel:WORD_1
	v_fma_f16 v25, v32, v35, v25
	v_pack_b32_f16 v25, v34, v25
	ds_write2_b32 v16, v24, v25 offset0:192 offset1:240
	s_waitcnt lgkmcnt(1)
	v_lshrrev_b32_e32 v24, 16, v28
	s_waitcnt vmcnt(9)
	v_mul_f16_sdwa v25, v24, v36 dst_sel:DWORD dst_unused:UNUSED_PAD src0_sel:DWORD src1_sel:WORD_1
	v_fma_f16 v25, v28, v36, -v25
	v_mul_f16_sdwa v28, v28, v36 dst_sel:DWORD dst_unused:UNUSED_PAD src0_sel:DWORD src1_sel:WORD_1
	v_fma_f16 v24, v24, v36, v28
	v_lshrrev_b32_e32 v32, 16, v29
	v_pack_b32_f16 v28, v25, v24
	s_waitcnt vmcnt(8)
	v_mul_f16_sdwa v24, v32, v37 dst_sel:DWORD dst_unused:UNUSED_PAD src0_sel:DWORD src1_sel:WORD_1
	v_fma_f16 v34, v29, v37, -v24
	ds_read2_b32 v[24:25], v30 offset0:128 offset1:176
	v_mul_f16_sdwa v29, v29, v37 dst_sel:DWORD dst_unused:UNUSED_PAD src0_sel:DWORD src1_sel:WORD_1
	v_fma_f16 v29, v32, v37, v29
	v_pack_b32_f16 v29, v34, v29
	ds_write2_b32 v30, v28, v29 offset0:32 offset1:80
	s_waitcnt lgkmcnt(1)
	v_lshrrev_b32_e32 v28, 16, v24
	s_waitcnt vmcnt(7)
	v_mul_f16_sdwa v29, v28, v67 dst_sel:DWORD dst_unused:UNUSED_PAD src0_sel:DWORD src1_sel:WORD_1
	v_fma_f16 v29, v24, v67, -v29
	v_mul_f16_sdwa v24, v24, v67 dst_sel:DWORD dst_unused:UNUSED_PAD src0_sel:DWORD src1_sel:WORD_1
	v_lshrrev_b32_e32 v32, 16, v25
	v_fma_f16 v24, v28, v67, v24
	s_waitcnt vmcnt(6)
	v_mul_f16_sdwa v28, v32, v68 dst_sel:DWORD dst_unused:UNUSED_PAD src0_sel:DWORD src1_sel:WORD_1
	v_pack_b32_f16 v24, v29, v24
	v_fma_f16 v34, v25, v68, -v28
	ds_read2_b32 v[28:29], v22 offset0:96 offset1:144
	v_mul_f16_sdwa v25, v25, v68 dst_sel:DWORD dst_unused:UNUSED_PAD src0_sel:DWORD src1_sel:WORD_1
	v_fma_f16 v25, v32, v68, v25
	v_pack_b32_f16 v25, v34, v25
	ds_write2_b32 v30, v24, v25 offset0:128 offset1:176
	s_waitcnt lgkmcnt(1)
	v_lshrrev_b32_e32 v24, 16, v28
	s_waitcnt vmcnt(5)
	v_mul_f16_sdwa v25, v24, v69 dst_sel:DWORD dst_unused:UNUSED_PAD src0_sel:DWORD src1_sel:WORD_1
	v_fma_f16 v25, v28, v69, -v25
	v_mul_f16_sdwa v28, v28, v69 dst_sel:DWORD dst_unused:UNUSED_PAD src0_sel:DWORD src1_sel:WORD_1
	v_fma_f16 v24, v24, v69, v28
	v_lshrrev_b32_e32 v32, 16, v29
	v_pack_b32_f16 v28, v25, v24
	s_waitcnt vmcnt(4)
	v_mul_f16_sdwa v24, v32, v27 dst_sel:DWORD dst_unused:UNUSED_PAD src0_sel:DWORD src1_sel:WORD_1
	v_fma_f16 v34, v29, v27, -v24
	ds_read2_b32 v[24:25], v31 offset0:64 offset1:112
	v_mul_f16_sdwa v29, v29, v27 dst_sel:DWORD dst_unused:UNUSED_PAD src0_sel:DWORD src1_sel:WORD_1
	v_fma_f16 v27, v32, v27, v29
	v_pack_b32_f16 v27, v34, v27
	ds_write2_b32 v22, v28, v27 offset0:96 offset1:144
	s_waitcnt lgkmcnt(1)
	v_lshrrev_b32_e32 v27, 16, v24
	s_waitcnt vmcnt(3)
	v_mul_f16_sdwa v28, v27, v70 dst_sel:DWORD dst_unused:UNUSED_PAD src0_sel:DWORD src1_sel:WORD_1
	v_fma_f16 v28, v24, v70, -v28
	v_mul_f16_sdwa v24, v24, v70 dst_sel:DWORD dst_unused:UNUSED_PAD src0_sel:DWORD src1_sel:WORD_1
	v_fma_f16 v24, v27, v70, v24
	v_lshrrev_b32_e32 v27, 16, v25
	v_pack_b32_f16 v24, v28, v24
	s_waitcnt vmcnt(2)
	v_mul_f16_sdwa v28, v27, v71 dst_sel:DWORD dst_unused:UNUSED_PAD src0_sel:DWORD src1_sel:WORD_1
	v_fma_f16 v32, v25, v71, -v28
	ds_read2_b32 v[28:29], v31 offset0:160 offset1:208
	v_mul_f16_sdwa v25, v25, v71 dst_sel:DWORD dst_unused:UNUSED_PAD src0_sel:DWORD src1_sel:WORD_1
	v_fma_f16 v25, v27, v71, v25
	v_pack_b32_f16 v25, v32, v25
	ds_write2_b32 v31, v24, v25 offset0:64 offset1:112
	s_waitcnt lgkmcnt(1)
	v_lshrrev_b32_e32 v24, 16, v28
	s_waitcnt vmcnt(1)
	v_mul_f16_sdwa v25, v24, v72 dst_sel:DWORD dst_unused:UNUSED_PAD src0_sel:DWORD src1_sel:WORD_1
	v_mul_f16_sdwa v27, v28, v72 dst_sel:DWORD dst_unused:UNUSED_PAD src0_sel:DWORD src1_sel:WORD_1
	v_fma_f16 v25, v28, v72, -v25
	v_fma_f16 v24, v24, v72, v27
	v_pack_b32_f16 v24, v25, v24
	v_lshrrev_b32_e32 v25, 16, v29
	s_waitcnt vmcnt(0)
	v_mul_f16_sdwa v27, v25, v33 dst_sel:DWORD dst_unused:UNUSED_PAD src0_sel:DWORD src1_sel:WORD_1
	v_mul_f16_sdwa v28, v29, v33 dst_sel:DWORD dst_unused:UNUSED_PAD src0_sel:DWORD src1_sel:WORD_1
	v_fma_f16 v27, v29, v33, -v27
	v_fma_f16 v25, v25, v33, v28
	v_pack_b32_f16 v25, v27, v25
	ds_write2_b32 v31, v24, v25 offset0:160 offset1:208
	s_waitcnt lgkmcnt(0)
	; wave barrier
	s_waitcnt lgkmcnt(0)
	ds_read2_b32 v[24:25], v16 offset1:48
	ds_read2_b32 v[28:29], v16 offset0:96 offset1:144
	ds_read2_b32 v[32:33], v16 offset0:192 offset1:240
	ds_read2_b32 v[34:35], v30 offset0:128 offset1:176
	ds_read2_b32 v[36:37], v30 offset0:32 offset1:80
	ds_read2_b32 v[68:69], v31 offset0:64 offset1:112
	ds_read2_b32 v[70:71], v22 offset0:96 offset1:144
	ds_read2_b32 v[72:73], v31 offset0:160 offset1:208
	s_waitcnt lgkmcnt(4)
	v_pk_add_f16 v22, v24, v34 neg_lo:[0,1] neg_hi:[0,1]
	v_pk_add_f16 v35, v25, v35 neg_lo:[0,1] neg_hi:[0,1]
	s_waitcnt lgkmcnt(2)
	v_pk_add_f16 v27, v32, v68 neg_lo:[0,1] neg_hi:[0,1]
	s_waitcnt lgkmcnt(1)
	;; [unrolled: 2-line block ×3, first 2 shown]
	v_pk_add_f16 v67, v36, v72 neg_lo:[0,1] neg_hi:[0,1]
	v_lshrrev_b32_e32 v72, 16, v22
	v_lshrrev_b32_e32 v74, 16, v34
	v_pk_fma_f16 v32, v32, 2.0, v27 op_sel_hi:[1,0,1] neg_lo:[0,0,1] neg_hi:[0,0,1]
	v_pk_fma_f16 v36, v36, 2.0, v67 op_sel_hi:[1,0,1] neg_lo:[0,0,1] neg_hi:[0,0,1]
	v_pk_add_f16 v68, v33, v69 neg_lo:[0,1] neg_hi:[0,1]
	v_pk_add_f16 v69, v29, v71 neg_lo:[0,1] neg_hi:[0,1]
	v_pk_add_f16 v70, v37, v73 neg_lo:[0,1] neg_hi:[0,1]
	v_add_f16_sdwa v71, v22, v27 dst_sel:DWORD dst_unused:UNUSED_PAD src0_sel:DWORD src1_sel:WORD_1
	v_sub_f16_e32 v27, v72, v27
	v_add_f16_sdwa v73, v34, v67 dst_sel:DWORD dst_unused:UNUSED_PAD src0_sel:DWORD src1_sel:WORD_1
	v_sub_f16_e32 v67, v74, v67
	v_pk_fma_f16 v24, v24, 2.0, v22 op_sel_hi:[1,0,1] neg_lo:[0,0,1] neg_hi:[0,0,1]
	v_pk_fma_f16 v28, v28, 2.0, v34 op_sel_hi:[1,0,1] neg_lo:[0,0,1] neg_hi:[0,0,1]
	v_fma_f16 v22, v22, 2.0, -v71
	v_fma_f16 v72, v72, 2.0, -v27
	v_fma_f16 v34, v34, 2.0, -v73
	v_fma_f16 v74, v74, 2.0, -v67
	v_pk_add_f16 v32, v24, v32 neg_lo:[0,1] neg_hi:[0,1]
	v_pk_add_f16 v36, v28, v36 neg_lo:[0,1] neg_hi:[0,1]
	v_fma_f16 v79, v34, s10, v22
	v_fma_f16 v80, v74, s10, v72
	v_add_f16_sdwa v75, v35, v68 dst_sel:DWORD dst_unused:UNUSED_PAD src0_sel:DWORD src1_sel:WORD_1
	v_add_f16_sdwa v77, v69, v70 dst_sel:DWORD dst_unused:UNUSED_PAD src0_sel:DWORD src1_sel:WORD_1
	v_lshrrev_b32_e32 v78, 16, v69
	v_fma_f16 v74, v74, s11, v79
	v_fma_f16 v79, v34, s10, v80
	v_add_f16_sdwa v80, v32, v36 dst_sel:DWORD dst_unused:UNUSED_PAD src0_sel:DWORD src1_sel:WORD_1
	v_pk_fma_f16 v25, v25, 2.0, v35 op_sel_hi:[1,0,1] neg_lo:[0,0,1] neg_hi:[0,0,1]
	v_pk_fma_f16 v33, v33, 2.0, v68 op_sel_hi:[1,0,1] neg_lo:[0,0,1] neg_hi:[0,0,1]
	;; [unrolled: 1-line block ×5, first 2 shown]
	v_lshrrev_b32_e32 v76, 16, v35
	v_fma_f16 v35, v35, 2.0, -v75
	v_sub_f16_e32 v70, v78, v70
	v_fma_f16 v69, v69, 2.0, -v77
	v_lshrrev_b32_e32 v34, 16, v32
	v_fma_f16 v81, v32, 2.0, -v80
	v_fma_f16 v32, v73, s11, v71
	v_pk_fma_f16 v28, v28, 2.0, v36 op_sel_hi:[1,0,1] neg_lo:[0,0,1] neg_hi:[0,0,1]
	v_pk_add_f16 v33, v25, v33 neg_lo:[0,1] neg_hi:[0,1]
	v_sub_f16_e32 v68, v76, v68
	v_pk_add_f16 v37, v29, v37 neg_lo:[0,1] neg_hi:[0,1]
	v_fma_f16 v78, v78, 2.0, -v70
	v_sub_f16_e32 v36, v34, v36
	v_fma_f16 v83, v67, s11, v32
	v_fma_f16 v32, v69, s10, v35
	v_pk_fma_f16 v25, v25, 2.0, v33 op_sel_hi:[1,0,1] neg_lo:[0,0,1] neg_hi:[0,0,1]
	v_fma_f16 v76, v76, 2.0, -v68
	v_pk_fma_f16 v29, v29, 2.0, v37 op_sel_hi:[1,0,1] neg_lo:[0,0,1] neg_hi:[0,0,1]
	v_fma_f16 v82, v34, 2.0, -v36
	v_fma_f16 v34, v67, s11, v27
	v_fma_f16 v67, v71, 2.0, -v83
	v_fma_f16 v71, v78, s11, v32
	v_lshrrev_b32_e32 v32, 16, v33
	v_pk_add_f16 v28, v24, v28 neg_lo:[0,1] neg_hi:[0,1]
	v_fma_f16 v73, v73, s10, v34
	v_pk_add_f16 v29, v25, v29 neg_lo:[0,1] neg_hi:[0,1]
	v_fma_f16 v34, v78, s10, v76
	v_add_f16_sdwa v78, v33, v37 dst_sel:DWORD dst_unused:UNUSED_PAD src0_sel:DWORD src1_sel:WORD_1
	v_sub_f16_e32 v37, v32, v37
	v_pk_fma_f16 v24, v24, 2.0, v28 op_sel_hi:[1,0,1] neg_lo:[0,0,1] neg_hi:[0,0,1]
	v_pk_fma_f16 v25, v25, 2.0, v29 op_sel_hi:[1,0,1] neg_lo:[0,0,1] neg_hi:[0,0,1]
	v_fma_f16 v84, v32, 2.0, -v37
	v_fma_f16 v32, v77, s11, v75
	v_fma_f16 v22, v22, 2.0, -v74
	v_fma_f16 v69, v69, s10, v34
	;; [unrolled: 2-line block ×3, first 2 shown]
	v_fma_f16 v70, v70, s11, v32
	v_pk_add_f16 v32, v24, v25 neg_lo:[0,1] neg_hi:[0,1]
	v_fma_f16 v72, v72, 2.0, -v79
	v_fma_f16 v76, v76, 2.0, -v69
	v_fma_f16 v77, v77, s10, v34
	v_pk_fma_f16 v34, v24, 2.0, v32 op_sel_hi:[1,0,1] neg_lo:[0,0,1] neg_hi:[0,0,1]
	v_fma_f16 v24, v35, s14, v22
	v_fma_f16 v33, v33, 2.0, -v78
	v_fma_f16 v25, v76, s14, v72
	v_fma_f16 v24, v76, s13, v24
	v_fma_f16 v75, v75, 2.0, -v70
	v_fma_f16 v25, v35, s12, v25
	v_fma_f16 v35, v22, 2.0, -v24
	v_fma_f16 v22, v33, s10, v81
	v_fma_f16 v76, v84, s10, v82
	v_fma_f16 v27, v27, 2.0, -v73
	v_fma_f16 v68, v68, 2.0, -v77
	v_fma_f16 v84, v84, s11, v22
	v_fma_f16 v33, v33, s10, v76
	;; [unrolled: 1-line block ×3, first 2 shown]
	v_fma_f16 v76, v81, 2.0, -v84
	v_fma_f16 v81, v82, 2.0, -v33
	v_fma_f16 v82, v68, s12, v27
	v_fma_f16 v68, v68, s15, v22
	v_lshrrev_b32_e32 v22, 16, v28
	v_fma_f16 v75, v75, s14, v82
	v_fma_f16 v82, v67, 2.0, -v68
	v_add_f16_sdwa v85, v28, v29 dst_sel:DWORD dst_unused:UNUSED_PAD src0_sel:DWORD src1_sel:WORD_1
	v_sub_f16_e32 v29, v22, v29
	v_fma_f16 v67, v69, s13, v79
	v_fma_f16 v86, v22, 2.0, -v29
	v_fma_f16 v22, v71, s13, v74
	v_fma_f16 v71, v71, s14, v67
	;; [unrolled: 1-line block ×7, first 2 shown]
	v_fma_f16 v88, v36, 2.0, -v78
	v_fma_f16 v22, v70, s15, v83
	v_fma_f16 v36, v77, s15, v73
	v_fma_f16 v72, v72, 2.0, -v25
	v_fma_f16 v27, v27, 2.0, -v75
	v_fma_f16 v22, v77, s13, v22
	v_fma_f16 v67, v70, s12, v36
	v_fma_f16 v28, v28, 2.0, -v85
	v_fma_f16 v74, v74, 2.0, -v69
	v_fma_f16 v79, v79, 2.0, -v71
	v_fma_f16 v80, v80, 2.0, -v87
	v_fma_f16 v70, v83, 2.0, -v22
	v_fma_f16 v73, v73, 2.0, -v67
	v_pack_b32_f16 v37, v82, v27
	v_pack_b32_f16 v36, v76, v81
	;; [unrolled: 1-line block ×3, first 2 shown]
	s_waitcnt lgkmcnt(0)
	; wave barrier
	ds_write_b128 v26, v[34:37]
	v_pack_b32_f16 v37, v70, v73
	v_pack_b32_f16 v36, v80, v88
	;; [unrolled: 1-line block ×4, first 2 shown]
	ds_write_b128 v26, v[34:37] offset:16
	v_pack_b32_f16 v35, v68, v75
	v_pack_b32_f16 v34, v84, v33
	;; [unrolled: 1-line block ×3, first 2 shown]
	ds_write_b128 v26, v[32:35] offset:32
	v_pack_b32_f16 v35, v22, v67
	v_pack_b32_f16 v34, v87, v78
	;; [unrolled: 1-line block ×4, first 2 shown]
	ds_write_b128 v26, v[32:35] offset:48
	s_waitcnt lgkmcnt(0)
	; wave barrier
	s_waitcnt lgkmcnt(0)
	ds_read2_b32 v[28:29], v16 offset1:48
	ds_read2_b32 v[36:37], v31 offset1:48
	ds_read2_b32 v[34:35], v30 offset0:48 offset1:96
	ds_read2_b32 v[26:27], v16 offset0:96 offset1:144
	;; [unrolled: 1-line block ×4, first 2 shown]
	ds_read2st64_b32 v[24:25], v16 offset0:3 offset1:4
	ds_read_b32 v68, v16 offset:2816
	s_and_saveexec_b64 s[2:3], vcc
	s_cbranch_execz .LBB0_7
; %bb.6:
	v_add_u32_e32 v15, 0xc0, v16
	ds_read2st64_b32 v[22:23], v15 offset0:3 offset1:7
	ds_read_b32 v15, v16 offset:3008
	s_waitcnt lgkmcnt(1)
	v_lshrrev_b32_e32 v67, 16, v22
	v_lshrrev_b32_e32 v60, 16, v23
	s_waitcnt lgkmcnt(0)
	v_lshrrev_b32_e32 v61, 16, v15
.LBB0_7:
	s_or_b64 exec, exec, s[2:3]
	s_waitcnt lgkmcnt(1)
	v_lshrrev_b32_e32 v70, 16, v25
	v_mul_f16_sdwa v84, v58, v70 dst_sel:DWORD dst_unused:UNUSED_PAD src0_sel:WORD_1 src1_sel:DWORD
	v_lshrrev_b32_e32 v71, 16, v36
	v_fma_f16 v84, v59, v25, v84
	v_mul_f16_sdwa v25, v58, v25 dst_sel:DWORD dst_unused:UNUSED_PAD src0_sel:WORD_1 src1_sel:DWORD
	v_fma_f16 v25, v59, v70, -v25
	v_mul_f16_sdwa v70, v55, v71 dst_sel:DWORD dst_unused:UNUSED_PAD src0_sel:WORD_1 src1_sel:DWORD
	v_lshrrev_b32_e32 v73, 16, v34
	v_fma_f16 v70, v17, v36, v70
	v_mul_f16_sdwa v36, v55, v36 dst_sel:DWORD dst_unused:UNUSED_PAD src0_sel:WORD_1 src1_sel:DWORD
	v_fma_f16 v36, v17, v71, -v36
	v_mul_f16_sdwa v71, v58, v73 dst_sel:DWORD dst_unused:UNUSED_PAD src0_sel:WORD_1 src1_sel:DWORD
	v_lshrrev_b32_e32 v74, 16, v37
	v_fma_f16 v71, v59, v34, v71
	v_mul_f16_sdwa v34, v58, v34 dst_sel:DWORD dst_unused:UNUSED_PAD src0_sel:WORD_1 src1_sel:DWORD
	v_fma_f16 v34, v59, v73, -v34
	v_mul_f16_sdwa v73, v55, v74 dst_sel:DWORD dst_unused:UNUSED_PAD src0_sel:WORD_1 src1_sel:DWORD
	v_lshrrev_b32_e32 v76, 16, v35
	v_fma_f16 v73, v17, v37, v73
	v_mul_f16_sdwa v37, v55, v37 dst_sel:DWORD dst_unused:UNUSED_PAD src0_sel:WORD_1 src1_sel:DWORD
	v_fma_f16 v37, v17, v74, -v37
	v_mul_f16_sdwa v74, v58, v76 dst_sel:DWORD dst_unused:UNUSED_PAD src0_sel:WORD_1 src1_sel:DWORD
	v_lshrrev_b32_e32 v77, 16, v32
	v_fma_f16 v74, v59, v35, v74
	v_mul_f16_sdwa v35, v58, v35 dst_sel:DWORD dst_unused:UNUSED_PAD src0_sel:WORD_1 src1_sel:DWORD
	v_fma_f16 v35, v59, v76, -v35
	v_mul_f16_sdwa v76, v55, v77 dst_sel:DWORD dst_unused:UNUSED_PAD src0_sel:WORD_1 src1_sel:DWORD
	v_lshrrev_b32_e32 v79, 16, v30
	v_fma_f16 v76, v17, v32, v76
	v_mul_f16_sdwa v32, v55, v32 dst_sel:DWORD dst_unused:UNUSED_PAD src0_sel:WORD_1 src1_sel:DWORD
	v_fma_f16 v32, v17, v77, -v32
	v_mul_f16_sdwa v77, v58, v79 dst_sel:DWORD dst_unused:UNUSED_PAD src0_sel:WORD_1 src1_sel:DWORD
	v_lshrrev_b32_e32 v80, 16, v33
	v_fma_f16 v77, v59, v30, v77
	v_mul_f16_sdwa v30, v58, v30 dst_sel:DWORD dst_unused:UNUSED_PAD src0_sel:WORD_1 src1_sel:DWORD
	v_fma_f16 v30, v59, v79, -v30
	v_mul_f16_sdwa v79, v55, v80 dst_sel:DWORD dst_unused:UNUSED_PAD src0_sel:WORD_1 src1_sel:DWORD
	v_lshrrev_b32_e32 v82, 16, v31
	v_fma_f16 v79, v17, v33, v79
	v_mul_f16_sdwa v33, v55, v33 dst_sel:DWORD dst_unused:UNUSED_PAD src0_sel:WORD_1 src1_sel:DWORD
	v_fma_f16 v33, v17, v80, -v33
	v_mul_f16_sdwa v80, v58, v82 dst_sel:DWORD dst_unused:UNUSED_PAD src0_sel:WORD_1 src1_sel:DWORD
	s_waitcnt lgkmcnt(0)
	v_lshrrev_b32_e32 v83, 16, v68
	v_fma_f16 v80, v59, v31, v80
	v_mul_f16_sdwa v31, v58, v31 dst_sel:DWORD dst_unused:UNUSED_PAD src0_sel:WORD_1 src1_sel:DWORD
	v_fma_f16 v31, v59, v82, -v31
	v_mul_f16_sdwa v59, v55, v83 dst_sel:DWORD dst_unused:UNUSED_PAD src0_sel:WORD_1 src1_sel:DWORD
	v_fma_f16 v59, v17, v68, v59
	v_mul_f16_sdwa v68, v55, v68 dst_sel:DWORD dst_unused:UNUSED_PAD src0_sel:WORD_1 src1_sel:DWORD
	v_add_f16_e32 v82, v84, v70
	v_lshrrev_b32_e32 v69, 16, v28
	v_fma_f16 v17, v17, v83, -v68
	v_add_f16_e32 v68, v28, v84
	v_fma_f16 v28, v82, -0.5, v28
	v_sub_f16_e32 v82, v25, v36
	s_mov_b32 s8, 0xbaee
	s_movk_i32 s9, 0x3aee
	v_fma_f16 v83, v82, s8, v28
	v_fma_f16 v28, v82, s9, v28
	v_add_f16_e32 v82, v69, v25
	v_add_f16_e32 v25, v25, v36
	v_add_f16_e32 v68, v68, v70
	v_add_f16_e32 v82, v82, v36
	v_fma_f16 v25, v25, -0.5, v69
	v_sub_f16_e32 v36, v84, v70
	v_add_f16_e32 v70, v71, v73
	v_lshrrev_b32_e32 v72, 16, v29
	v_fma_f16 v69, v36, s9, v25
	v_fma_f16 v25, v36, s8, v25
	v_add_f16_e32 v36, v29, v71
	v_fma_f16 v29, v70, -0.5, v29
	v_sub_f16_e32 v70, v34, v37
	v_fma_f16 v84, v70, s8, v29
	v_fma_f16 v29, v70, s9, v29
	v_add_f16_e32 v70, v72, v34
	v_add_f16_e32 v34, v34, v37
	v_add_f16_e32 v70, v70, v37
	v_fma_f16 v34, v34, -0.5, v72
	v_sub_f16_e32 v37, v71, v73
	v_add_f16_e32 v72, v74, v76
	v_lshrrev_b32_e32 v75, 16, v26
	v_fma_f16 v71, v37, s9, v34
	v_fma_f16 v34, v37, s8, v34
	v_add_f16_e32 v37, v26, v74
	v_fma_f16 v26, v72, -0.5, v26
	v_sub_f16_e32 v72, v35, v32
	v_add_f16_e32 v36, v36, v73
	v_fma_f16 v73, v72, s8, v26
	v_fma_f16 v26, v72, s9, v26
	v_add_f16_e32 v72, v75, v35
	v_add_f16_e32 v72, v72, v32
	v_add_f16_e32 v32, v35, v32
	v_fma_f16 v32, v32, -0.5, v75
	v_sub_f16_e32 v35, v74, v76
	v_add_f16_e32 v75, v77, v79
	v_lshrrev_b32_e32 v78, 16, v27
	v_fma_f16 v74, v35, s9, v32
	v_fma_f16 v32, v35, s8, v32
	v_add_f16_e32 v35, v27, v77
	v_fma_f16 v27, v75, -0.5, v27
	v_sub_f16_e32 v75, v30, v33
	v_add_f16_e32 v37, v37, v76
	;; [unrolled: 15-line block ×3, first 2 shown]
	v_fma_f16 v79, v78, s8, v24
	v_fma_f16 v24, v78, s9, v24
	v_add_f16_e32 v78, v81, v31
	v_add_f16_e32 v78, v78, v17
	;; [unrolled: 1-line block ×3, first 2 shown]
	v_fma_f16 v17, v17, -0.5, v81
	v_sub_f16_e32 v31, v80, v59
	v_pack_b32_f16 v25, v28, v25
	v_add_f16_e32 v33, v33, v59
	v_fma_f16 v59, v31, s9, v17
	v_fma_f16 v17, v31, s8, v17
	s_waitcnt lgkmcnt(0)
	; wave barrier
	v_pack_b32_f16 v31, v68, v82
	v_pack_b32_f16 v68, v83, v69
	ds_write_b32 v62, v25 offset:128
	v_pack_b32_f16 v25, v36, v70
	v_pack_b32_f16 v28, v84, v71
	ds_write2_b32 v62, v31, v68 offset1:16
	ds_write2_b32 v63, v25, v28 offset1:16
	v_pack_b32_f16 v25, v29, v34
	ds_write_b32 v63, v25 offset:128
	v_pack_b32_f16 v25, v37, v72
	v_pack_b32_f16 v28, v73, v74
	ds_write2_b32 v64, v25, v28 offset1:16
	v_pack_b32_f16 v25, v26, v32
	ds_write_b32 v64, v25 offset:128
	v_pack_b32_f16 v25, v35, v75
	v_pack_b32_f16 v26, v76, v77
	;; [unrolled: 5-line block ×3, first 2 shown]
	v_pack_b32_f16 v17, v24, v17
	ds_write2_b32 v66, v25, v26 offset1:16
	ds_write_b32 v66, v17 offset:128
	s_and_saveexec_b64 s[2:3], vcc
	s_cbranch_execz .LBB0_9
; %bb.8:
	v_mul_f16_e32 v26, v56, v60
	v_mul_f16_e32 v17, v57, v15
	;; [unrolled: 1-line block ×3, first 2 shown]
	v_fma_f16 v23, v58, v23, v26
	v_mul_f16_e32 v27, v57, v61
	v_fma_f16 v17, v55, v61, -v17
	v_fma_f16 v24, v58, v60, -v24
	v_add_f16_e32 v26, v23, v22
	v_fma_f16 v15, v55, v15, v27
	v_add_f16_e32 v25, v24, v67
	v_add_f16_e32 v26, v26, v15
	;; [unrolled: 1-line block ×3, first 2 shown]
	v_sub_f16_e32 v28, v23, v15
	v_add_f16_e32 v15, v23, v15
	v_add_f16_e32 v25, v17, v25
	v_fma_f16 v27, v27, -0.5, v67
	v_fma_f16 v15, v15, -0.5, v22
	v_sub_f16_e32 v17, v24, v17
	v_fma_f16 v29, v28, s8, v27
	v_fma_f16 v27, v28, s9, v27
	;; [unrolled: 1-line block ×4, first 2 shown]
	v_pack_b32_f16 v17, v26, v25
	v_pack_b32_f16 v15, v15, v27
	v_add_u32_e32 v23, 0x800, v16
	ds_write2_b32 v23, v17, v15 offset0:208 offset1:224
	v_pack_b32_f16 v15, v22, v29
	ds_write_b32 v16, v15 offset:3008
.LBB0_9:
	s_or_b64 exec, exec, s[2:3]
	s_waitcnt lgkmcnt(0)
	; wave barrier
	s_waitcnt lgkmcnt(0)
	ds_read2_b32 v[26:27], v16 offset1:48
	ds_read2_b32 v[28:29], v16 offset0:96 offset1:144
	ds_read2_b32 v[30:31], v16 offset0:192 offset1:240
	v_add_u32_e32 v24, 0x400, v16
	ds_read2_b32 v[32:33], v24 offset0:32 offset1:80
	s_waitcnt lgkmcnt(3)
	v_lshrrev_b32_e32 v25, 16, v27
	v_mul_f16_sdwa v73, v0, v25 dst_sel:DWORD dst_unused:UNUSED_PAD src0_sel:WORD_1 src1_sel:DWORD
	s_waitcnt lgkmcnt(2)
	v_lshrrev_b32_e32 v55, 16, v28
	v_fma_f16 v73, v0, v27, v73
	v_mul_f16_sdwa v27, v0, v27 dst_sel:DWORD dst_unused:UNUSED_PAD src0_sel:WORD_1 src1_sel:DWORD
	v_lshrrev_b32_e32 v60, 16, v29
	ds_read2_b32 v[34:35], v24 offset0:128 offset1:176
	v_fma_f16 v0, v0, v25, -v27
	v_mul_f16_sdwa v25, v1, v55 dst_sel:DWORD dst_unused:UNUSED_PAD src0_sel:WORD_1 src1_sel:DWORD
	v_mul_f16_sdwa v27, v1, v28 dst_sel:DWORD dst_unused:UNUSED_PAD src0_sel:WORD_1 src1_sel:DWORD
	s_waitcnt lgkmcnt(2)
	v_lshrrev_b32_e32 v61, 16, v30
	v_add_u32_e32 v17, 0x600, v16
	v_fma_f16 v25, v1, v28, v25
	v_fma_f16 v1, v1, v55, -v27
	v_mul_f16_sdwa v27, v2, v60 dst_sel:DWORD dst_unused:UNUSED_PAD src0_sel:WORD_1 src1_sel:DWORD
	v_mul_f16_sdwa v28, v2, v29 dst_sel:DWORD dst_unused:UNUSED_PAD src0_sel:WORD_1 src1_sel:DWORD
	v_lshrrev_b32_e32 v62, 16, v31
	ds_read2_b32 v[36:37], v17 offset0:96 offset1:144
	v_fma_f16 v27, v2, v29, v27
	v_fma_f16 v2, v2, v60, -v28
	v_mul_f16_sdwa v28, v3, v61 dst_sel:DWORD dst_unused:UNUSED_PAD src0_sel:WORD_1 src1_sel:DWORD
	v_mul_f16_sdwa v29, v3, v30 dst_sel:DWORD dst_unused:UNUSED_PAD src0_sel:WORD_1 src1_sel:DWORD
	s_waitcnt lgkmcnt(2)
	v_lshrrev_b32_e32 v63, 16, v32
	v_add_u32_e32 v15, 0x800, v16
	v_fma_f16 v28, v3, v30, v28
	v_fma_f16 v3, v3, v61, -v29
	v_mul_f16_sdwa v29, v4, v62 dst_sel:DWORD dst_unused:UNUSED_PAD src0_sel:WORD_1 src1_sel:DWORD
	v_mul_f16_sdwa v30, v4, v31 dst_sel:DWORD dst_unused:UNUSED_PAD src0_sel:WORD_1 src1_sel:DWORD
	v_lshrrev_b32_e32 v64, 16, v33
	ds_read2_b32 v[56:57], v15 offset0:64 offset1:112
	v_fma_f16 v29, v4, v31, v29
	v_fma_f16 v4, v4, v62, -v30
	v_mul_f16_sdwa v30, v5, v63 dst_sel:DWORD dst_unused:UNUSED_PAD src0_sel:WORD_1 src1_sel:DWORD
	v_mul_f16_sdwa v31, v5, v32 dst_sel:DWORD dst_unused:UNUSED_PAD src0_sel:WORD_1 src1_sel:DWORD
	s_waitcnt lgkmcnt(2)
	v_lshrrev_b32_e32 v65, 16, v34
	v_fma_f16 v30, v5, v32, v30
	v_fma_f16 v5, v5, v63, -v31
	v_mul_f16_sdwa v31, v6, v64 dst_sel:DWORD dst_unused:UNUSED_PAD src0_sel:WORD_1 src1_sel:DWORD
	v_mul_f16_sdwa v32, v6, v33 dst_sel:DWORD dst_unused:UNUSED_PAD src0_sel:WORD_1 src1_sel:DWORD
	v_lshrrev_b32_e32 v66, 16, v35
	ds_read2_b32 v[58:59], v15 offset0:160 offset1:208
	v_fma_f16 v31, v6, v33, v31
	v_fma_f16 v6, v6, v64, -v32
	v_mul_f16_sdwa v32, v7, v65 dst_sel:DWORD dst_unused:UNUSED_PAD src0_sel:WORD_1 src1_sel:DWORD
	v_mul_f16_sdwa v33, v7, v34 dst_sel:DWORD dst_unused:UNUSED_PAD src0_sel:WORD_1 src1_sel:DWORD
	s_waitcnt lgkmcnt(2)
	v_lshrrev_b32_e32 v67, 16, v36
	v_fma_f16 v32, v7, v34, v32
	v_fma_f16 v7, v7, v65, -v33
	v_mul_f16_sdwa v33, v8, v66 dst_sel:DWORD dst_unused:UNUSED_PAD src0_sel:WORD_1 src1_sel:DWORD
	v_mul_f16_sdwa v34, v8, v35 dst_sel:DWORD dst_unused:UNUSED_PAD src0_sel:WORD_1 src1_sel:DWORD
	v_lshrrev_b32_e32 v68, 16, v37
	v_fma_f16 v33, v8, v35, v33
	v_fma_f16 v8, v8, v66, -v34
	v_mul_f16_sdwa v34, v9, v67 dst_sel:DWORD dst_unused:UNUSED_PAD src0_sel:WORD_1 src1_sel:DWORD
	v_mul_f16_sdwa v35, v9, v36 dst_sel:DWORD dst_unused:UNUSED_PAD src0_sel:WORD_1 src1_sel:DWORD
	s_waitcnt lgkmcnt(1)
	v_lshrrev_b32_e32 v69, 16, v56
	v_fma_f16 v34, v9, v36, v34
	v_fma_f16 v9, v9, v67, -v35
	v_mul_f16_sdwa v35, v10, v68 dst_sel:DWORD dst_unused:UNUSED_PAD src0_sel:WORD_1 src1_sel:DWORD
	v_mul_f16_sdwa v36, v10, v37 dst_sel:DWORD dst_unused:UNUSED_PAD src0_sel:WORD_1 src1_sel:DWORD
	v_lshrrev_b32_e32 v70, 16, v57
	v_fma_f16 v35, v10, v37, v35
	v_fma_f16 v10, v10, v68, -v36
	v_mul_f16_sdwa v36, v11, v69 dst_sel:DWORD dst_unused:UNUSED_PAD src0_sel:WORD_1 src1_sel:DWORD
	v_mul_f16_sdwa v37, v11, v56 dst_sel:DWORD dst_unused:UNUSED_PAD src0_sel:WORD_1 src1_sel:DWORD
	s_waitcnt lgkmcnt(0)
	v_lshrrev_b32_e32 v71, 16, v58
	v_fma_f16 v36, v11, v56, v36
	v_fma_f16 v11, v11, v69, -v37
	v_mul_f16_sdwa v37, v12, v70 dst_sel:DWORD dst_unused:UNUSED_PAD src0_sel:WORD_1 src1_sel:DWORD
	v_mul_f16_sdwa v55, v12, v57 dst_sel:DWORD dst_unused:UNUSED_PAD src0_sel:WORD_1 src1_sel:DWORD
	v_fma_f16 v37, v12, v57, v37
	v_fma_f16 v12, v12, v70, -v55
	v_mul_f16_sdwa v55, v13, v71 dst_sel:DWORD dst_unused:UNUSED_PAD src0_sel:WORD_1 src1_sel:DWORD
	v_mul_f16_sdwa v56, v13, v58 dst_sel:DWORD dst_unused:UNUSED_PAD src0_sel:WORD_1 src1_sel:DWORD
	v_lshrrev_b32_e32 v23, 16, v26
	v_lshrrev_b32_e32 v72, 16, v59
	v_fma_f16 v55, v13, v58, v55
	v_fma_f16 v13, v13, v71, -v56
	v_mul_f16_sdwa v56, v14, v72 dst_sel:DWORD dst_unused:UNUSED_PAD src0_sel:WORD_1 src1_sel:DWORD
	v_mul_f16_sdwa v57, v14, v59 dst_sel:DWORD dst_unused:UNUSED_PAD src0_sel:WORD_1 src1_sel:DWORD
	v_sub_f16_e32 v32, v26, v32
	v_sub_f16_e32 v7, v23, v7
	;; [unrolled: 1-line block ×8, first 2 shown]
	v_fma_f16 v56, v14, v59, v56
	v_fma_f16 v14, v14, v72, -v57
	v_fma_f16 v28, v28, 2.0, -v36
	v_fma_f16 v3, v3, 2.0, -v11
	;; [unrolled: 1-line block ×4, first 2 shown]
	v_add_f16_e32 v11, v32, v11
	v_sub_f16_e32 v36, v7, v36
	v_add_f16_e32 v13, v34, v13
	v_sub_f16_e32 v55, v9, v55
	v_mov_b32_e32 v22, s0
	v_fma_f16 v26, v26, 2.0, -v32
	v_fma_f16 v23, v23, 2.0, -v7
	;; [unrolled: 1-line block ×4, first 2 shown]
	v_sub_f16_e32 v33, v73, v33
	v_sub_f16_e32 v8, v0, v8
	;; [unrolled: 1-line block ×8, first 2 shown]
	v_fma_f16 v32, v32, 2.0, -v11
	v_fma_f16 v7, v7, 2.0, -v36
	;; [unrolled: 1-line block ×4, first 2 shown]
	s_mov_b32 s0, 0xb9a8
	v_fma_f16 v29, v29, 2.0, -v37
	v_fma_f16 v4, v4, 2.0, -v12
	;; [unrolled: 1-line block ×4, first 2 shown]
	v_add_f16_e32 v12, v33, v12
	v_sub_f16_e32 v37, v8, v37
	v_add_f16_e32 v14, v35, v14
	v_sub_f16_e32 v56, v10, v56
	v_fma_f16 v58, v34, s0, v32
	v_fma_f16 v59, v9, s0, v7
	s_movk_i32 s2, 0x39a8
	v_fma_f16 v57, v73, 2.0, -v33
	v_fma_f16 v0, v0, 2.0, -v8
	;; [unrolled: 1-line block ×8, first 2 shown]
	v_fma_f16 v9, v9, s2, v58
	v_fma_f16 v34, v34, s0, v59
	;; [unrolled: 1-line block ×8, first 2 shown]
	v_sub_f16_e32 v28, v26, v28
	v_sub_f16_e32 v3, v23, v3
	;; [unrolled: 1-line block ×8, first 2 shown]
	v_fma_f16 v10, v10, s2, v58
	v_fma_f16 v35, v35, s0, v59
	v_fma_f16 v25, v25, 2.0, -v30
	v_fma_f16 v1, v1, 2.0, -v5
	;; [unrolled: 1-line block ×6, first 2 shown]
	v_add_f16_e32 v5, v28, v5
	v_sub_f16_e32 v30, v3, v30
	v_fma_f16 v33, v33, 2.0, -v10
	v_fma_f16 v8, v8, 2.0, -v35
	v_add_f16_e32 v6, v29, v6
	v_sub_f16_e32 v31, v4, v31
	v_fma_f16 v58, v14, s2, v12
	v_fma_f16 v59, v56, s2, v37
	s_mov_b32 s3, 0xbb64
	v_fma_f16 v26, v26, 2.0, -v28
	v_fma_f16 v23, v23, 2.0, -v3
	;; [unrolled: 1-line block ×8, first 2 shown]
	v_fma_f16 v56, v56, s2, v58
	v_fma_f16 v14, v14, s0, v59
	;; [unrolled: 1-line block ×4, first 2 shown]
	s_movk_i32 s8, 0x361f
	s_mov_b32 s9, 0xb61f
	v_sub_f16_e32 v25, v26, v25
	v_sub_f16_e32 v1, v23, v1
	v_fma_f16 v11, v11, 2.0, -v55
	v_fma_f16 v36, v36, 2.0, -v13
	v_sub_f16_e32 v27, v57, v27
	v_sub_f16_e32 v2, v0, v2
	v_fma_f16 v12, v12, 2.0, -v56
	v_fma_f16 v37, v37, 2.0, -v14
	v_fma_f16 v8, v8, s8, v58
	v_fma_f16 v33, v33, s9, v59
	;; [unrolled: 1-line block ×4, first 2 shown]
	v_fma_f16 v26, v26, 2.0, -v25
	v_fma_f16 v23, v23, 2.0, -v1
	;; [unrolled: 1-line block ×4, first 2 shown]
	v_fma_f16 v4, v4, s2, v58
	v_fma_f16 v29, v29, s0, v59
	;; [unrolled: 1-line block ×4, first 2 shown]
	s_movk_i32 s10, 0x3b64
	v_sub_f16_e32 v57, v26, v57
	v_sub_f16_e32 v0, v23, v0
	v_fma_f16 v37, v37, s10, v58
	v_fma_f16 v12, v12, s3, v59
	;; [unrolled: 1-line block ×4, first 2 shown]
	v_fma_f16 v26, v26, 2.0, -v57
	v_fma_f16 v23, v23, 2.0, -v0
	;; [unrolled: 1-line block ×4, first 2 shown]
	v_fma_f16 v35, v35, s10, v58
	v_fma_f16 v10, v10, s3, v59
	;; [unrolled: 1-line block ×4, first 2 shown]
	v_fma_f16 v28, v28, 2.0, -v4
	v_fma_f16 v3, v3, 2.0, -v29
	;; [unrolled: 1-line block ×4, first 2 shown]
	v_add_f16_e32 v2, v25, v2
	v_sub_f16_e32 v27, v1, v27
	v_fma_f16 v31, v31, s2, v58
	v_fma_f16 v6, v6, s0, v59
	;; [unrolled: 1-line block ×4, first 2 shown]
	v_pack_b32_f16 v23, v26, v23
	v_pack_b32_f16 v7, v32, v7
	v_fma_f16 v25, v25, 2.0, -v2
	v_fma_f16 v1, v1, 2.0, -v27
	;; [unrolled: 1-line block ×4, first 2 shown]
	v_fma_f16 v14, v14, s8, v58
	v_fma_f16 v56, v56, s9, v59
	ds_write2_b32 v16, v23, v7 offset1:48
	v_pack_b32_f16 v3, v28, v3
	v_pack_b32_f16 v7, v11, v36
	v_fma_f16 v5, v5, 2.0, -v31
	v_fma_f16 v30, v30, 2.0, -v6
	;; [unrolled: 1-line block ×4, first 2 shown]
	ds_write2_b32 v16, v3, v7 offset0:96 offset1:144
	v_pack_b32_f16 v1, v25, v1
	v_pack_b32_f16 v3, v9, v34
	ds_write2_b32 v16, v1, v3 offset0:192 offset1:240
	v_pack_b32_f16 v1, v5, v30
	v_pack_b32_f16 v3, v55, v13
	ds_write2_b32 v24, v1, v3 offset0:32 offset1:80
	v_pack_b32_f16 v0, v57, v0
	v_pack_b32_f16 v1, v8, v33
	ds_write2_b32 v24, v0, v1 offset0:128 offset1:176
	v_pack_b32_f16 v0, v4, v29
	v_pack_b32_f16 v1, v37, v12
	ds_write2_b32 v17, v0, v1 offset0:96 offset1:144
	v_pack_b32_f16 v0, v2, v27
	v_pack_b32_f16 v1, v35, v10
	ds_write2_b32 v15, v0, v1 offset0:64 offset1:112
	v_pack_b32_f16 v0, v31, v6
	v_pack_b32_f16 v1, v14, v56
	ds_write2_b32 v15, v0, v1 offset0:160 offset1:208
	s_waitcnt lgkmcnt(0)
	; wave barrier
	s_waitcnt lgkmcnt(0)
	ds_read2_b32 v[4:5], v16 offset1:48
	v_mov_b32_e32 v23, s1
	v_mad_u64_u32 v[0:1], s[0:1], s6, v20, 0
	v_mov_b32_e32 v2, v1
	s_waitcnt lgkmcnt(0)
	v_lshrrev_b32_e32 v6, 16, v4
	v_mul_f16_sdwa v1, v54, v6 dst_sel:DWORD dst_unused:UNUSED_PAD src0_sel:WORD_1 src1_sel:DWORD
	v_fma_f16 v1, v54, v4, v1
	v_cvt_f32_f16_e32 v7, v1
	v_mad_u64_u32 v[2:3], s[0:1], s7, v20, v[2:3]
	s_mov_b32 s2, 0x55555555
	v_mov_b32_e32 v1, v2
	v_cvt_f64_f32_e32 v[2:3], v7
	s_mov_b32 s3, 0x3f555555
	v_mul_f64 v[2:3], v[2:3], s[2:3]
	s_movk_i32 s6, 0x1ff
	v_and_or_b32 v2, v3, s6, v2
	v_cmp_ne_u32_e32 vcc, 0, v2
	v_lshrrev_b32_e32 v7, 8, v3
	s_movk_i32 s7, 0xffe
	v_cndmask_b32_e64 v2, 0, 1, vcc
	v_bfe_u32 v8, v3, 20, 11
	v_and_or_b32 v7, v7, s7, v2
	v_sub_u32_e32 v9, 0x3f1, v8
	v_or_b32_e32 v2, 0x1000, v7
	v_med3_i32 v9, v9, 0, 13
	v_lshrrev_b32_e32 v10, v9, v2
	v_lshlrev_b32_e32 v9, v9, v10
	v_cmp_ne_u32_e32 vcc, v9, v2
	v_add_u32_e32 v8, 0xfffffc10, v8
	v_lshl_or_b32 v9, v8, 12, v7
	v_cndmask_b32_e64 v2, 0, 1, vcc
	v_or_b32_e32 v2, v10, v2
	v_cmp_gt_i32_e32 vcc, 1, v8
	v_mul_f16_sdwa v4, v54, v4 dst_sel:DWORD dst_unused:UNUSED_PAD src0_sel:WORD_1 src1_sel:DWORD
	v_fma_f16 v4, v54, v6, -v4
	v_cndmask_b32_e32 v2, v9, v2, vcc
	v_and_b32_e32 v9, 7, v2
	v_cmp_lt_i32_e32 vcc, 5, v9
	v_cmp_eq_u32_e64 s[0:1], 3, v9
	v_lshrrev_b32_e32 v2, 2, v2
	s_or_b64 vcc, s[0:1], vcc
	v_addc_co_u32_e32 v9, vcc, 0, v2, vcc
	v_mov_b32_e32 v2, 0x7c00
	v_cmp_gt_i32_e32 vcc, 31, v8
	v_cvt_f32_f16_e32 v4, v4
	s_movk_i32 s8, 0x40f
	v_cndmask_b32_e32 v9, v2, v9, vcc
	v_cmp_ne_u32_e32 vcc, 0, v7
	s_mov_b32 s9, 0x8000
	v_and_b32_sdwa v3, v3, s9 dst_sel:DWORD dst_unused:UNUSED_PAD src0_sel:WORD_1 src1_sel:DWORD
	v_cndmask_b32_e64 v7, 0, 1, vcc
	v_lshl_or_b32 v7, v7, 9, v2
	v_cmp_eq_u32_e32 vcc, s8, v8
	s_mov_b32 s10, 0xffff
	v_lshl_add_u64 v[0:1], v[0:1], 2, v[22:23]
	v_cndmask_b32_e32 v10, v9, v7, vcc
	v_cvt_f64_f32_e32 v[6:7], v4
	v_mul_f64 v[6:7], v[6:7], s[2:3]
	v_and_or_b32 v4, v7, s6, v6
	v_cmp_ne_u32_e32 vcc, 0, v4
	v_lshrrev_b32_e32 v6, 8, v7
	v_bfe_u32 v8, v7, 20, 11
	v_cndmask_b32_e64 v4, 0, 1, vcc
	v_and_or_b32 v4, v6, s7, v4
	v_sub_u32_e32 v9, 0x3f1, v8
	v_or_b32_e32 v6, 0x1000, v4
	v_med3_i32 v9, v9, 0, 13
	v_lshrrev_b32_e32 v11, v9, v6
	v_lshlrev_b32_e32 v9, v9, v11
	v_cmp_ne_u32_e32 vcc, v9, v6
	v_add_u32_e32 v8, 0xfffffc10, v8
	v_lshl_or_b32 v9, v8, 12, v4
	v_cndmask_b32_e64 v6, 0, 1, vcc
	v_or_b32_e32 v6, v11, v6
	v_cmp_gt_i32_e32 vcc, 1, v8
	v_bitop3_b32 v3, v3, s10, v10 bitop3:0xc8
	s_mul_i32 s11, s5, 0xc0
	v_cndmask_b32_e32 v6, v9, v6, vcc
	v_and_b32_e32 v9, 7, v6
	v_cmp_lt_i32_e32 vcc, 5, v9
	v_cmp_eq_u32_e64 s[0:1], 3, v9
	v_lshrrev_b32_e32 v6, 2, v6
	s_or_b64 vcc, s[0:1], vcc
	v_addc_co_u32_e32 v6, vcc, 0, v6, vcc
	v_cmp_gt_i32_e32 vcc, 31, v8
	s_mul_i32 s12, s5, 0x180
	s_nop 0
	v_cndmask_b32_e32 v6, v2, v6, vcc
	v_cmp_ne_u32_e32 vcc, 0, v4
	s_nop 1
	v_cndmask_b32_e64 v4, 0, 1, vcc
	v_lshl_or_b32 v4, v4, 9, v2
	v_cmp_eq_u32_e32 vcc, s8, v8
	s_nop 1
	v_cndmask_b32_e32 v4, v6, v4, vcc
	v_lshrrev_b32_e32 v6, 16, v7
	v_and_or_b32 v11, v6, s9, v4
	v_mad_u64_u32 v[6:7], s[0:1], s4, v18, 0
	v_mov_b32_e32 v4, v7
	v_mad_u64_u32 v[8:9], s[0:1], s5, v18, v[4:5]
	v_lshrrev_b32_e32 v4, 16, v5
	v_mov_b32_e32 v7, v8
	v_mul_f16_sdwa v8, v53, v4 dst_sel:DWORD dst_unused:UNUSED_PAD src0_sel:WORD_1 src1_sel:DWORD
	v_fma_f16 v8, v53, v5, v8
	v_cvt_f32_f16_e32 v8, v8
	v_lshl_or_b32 v3, v11, 16, v3
	v_lshl_add_u64 v[6:7], v[6:7], 2, v[0:1]
	global_store_dword v[6:7], v3, off
	v_cvt_f64_f32_e32 v[8:9], v8
	v_mul_f64 v[8:9], v[8:9], s[2:3]
	v_and_or_b32 v3, v9, s6, v8
	v_cmp_ne_u32_e32 vcc, 0, v3
	v_lshrrev_b32_e32 v8, 8, v9
	v_bfe_u32 v10, v9, 20, 11
	v_cndmask_b32_e64 v3, 0, 1, vcc
	v_and_or_b32 v3, v8, s7, v3
	v_sub_u32_e32 v11, 0x3f1, v10
	v_or_b32_e32 v8, 0x1000, v3
	v_med3_i32 v11, v11, 0, 13
	v_lshrrev_b32_e32 v12, v11, v8
	v_lshlrev_b32_e32 v11, v11, v12
	v_cmp_ne_u32_e32 vcc, v11, v8
	v_add_u32_e32 v10, 0xfffffc10, v10
	v_lshl_or_b32 v11, v10, 12, v3
	v_cndmask_b32_e64 v8, 0, 1, vcc
	v_or_b32_e32 v8, v12, v8
	v_cmp_gt_i32_e32 vcc, 1, v10
	v_mul_f16_sdwa v5, v53, v5 dst_sel:DWORD dst_unused:UNUSED_PAD src0_sel:WORD_1 src1_sel:DWORD
	v_fma_f16 v4, v53, v4, -v5
	v_cndmask_b32_e32 v8, v11, v8, vcc
	v_and_b32_e32 v11, 7, v8
	v_cmp_lt_i32_e32 vcc, 5, v11
	v_cmp_eq_u32_e64 s[0:1], 3, v11
	v_cvt_f32_f16_e32 v4, v4
	v_lshrrev_b32_e32 v8, 2, v8
	s_or_b64 vcc, s[0:1], vcc
	v_addc_co_u32_e32 v8, vcc, 0, v8, vcc
	v_cmp_gt_i32_e32 vcc, 31, v10
	v_cvt_f64_f32_e32 v[4:5], v4
	v_mul_f64 v[4:5], v[4:5], s[2:3]
	v_cndmask_b32_e32 v8, v2, v8, vcc
	v_cmp_ne_u32_e32 vcc, 0, v3
	v_and_or_b32 v4, v5, s6, v4
	s_nop 0
	v_cndmask_b32_e64 v3, 0, 1, vcc
	v_lshl_or_b32 v3, v3, 9, v2
	v_cmp_eq_u32_e32 vcc, s8, v10
	v_bfe_u32 v10, v5, 20, 11
	v_sub_u32_e32 v11, 0x3f1, v10
	v_cndmask_b32_e32 v3, v8, v3, vcc
	v_cmp_ne_u32_e32 vcc, 0, v4
	v_and_b32_sdwa v8, v9, s9 dst_sel:DWORD dst_unused:UNUSED_PAD src0_sel:WORD_1 src1_sel:DWORD
	v_lshrrev_b32_e32 v9, 8, v5
	v_cndmask_b32_e64 v4, 0, 1, vcc
	v_and_or_b32 v4, v9, s7, v4
	v_or_b32_e32 v9, 0x1000, v4
	v_med3_i32 v11, v11, 0, 13
	v_lshrrev_b32_e32 v12, v11, v9
	v_lshlrev_b32_e32 v11, v11, v12
	v_cmp_ne_u32_e32 vcc, v11, v9
	v_add_u32_e32 v10, 0xfffffc10, v10
	v_lshl_or_b32 v11, v10, 12, v4
	v_cndmask_b32_e64 v9, 0, 1, vcc
	v_or_b32_e32 v9, v12, v9
	v_cmp_gt_i32_e32 vcc, 1, v10
	v_lshrrev_b32_e32 v5, 16, v5
	v_bitop3_b32 v3, v8, s10, v3 bitop3:0xc8
	v_cndmask_b32_e32 v9, v11, v9, vcc
	v_and_b32_e32 v11, 7, v9
	v_cmp_lt_i32_e32 vcc, 5, v11
	v_cmp_eq_u32_e64 s[0:1], 3, v11
	v_lshrrev_b32_e32 v9, 2, v9
	s_or_b64 vcc, s[0:1], vcc
	v_addc_co_u32_e32 v9, vcc, 0, v9, vcc
	v_cmp_gt_i32_e32 vcc, 31, v10
	s_nop 1
	v_cndmask_b32_e32 v9, v2, v9, vcc
	v_cmp_ne_u32_e32 vcc, 0, v4
	s_nop 1
	v_cndmask_b32_e64 v4, 0, 1, vcc
	v_lshl_or_b32 v4, v4, 9, v2
	v_cmp_eq_u32_e32 vcc, s8, v10
	s_nop 1
	v_cndmask_b32_e32 v4, v9, v4, vcc
	v_and_or_b32 v9, v5, s9, v4
	ds_read2_b32 v[4:5], v16 offset0:96 offset1:144
	v_lshl_or_b32 v8, v9, 16, v3
	v_mov_b32_e32 v3, 0xc0
	v_mad_u64_u32 v[6:7], s[0:1], s4, v3, v[6:7]
	s_waitcnt lgkmcnt(0)
	v_lshrrev_b32_e32 v10, 16, v4
	v_mul_f16_sdwa v9, v51, v10 dst_sel:DWORD dst_unused:UNUSED_PAD src0_sel:WORD_1 src1_sel:DWORD
	v_fma_f16 v9, v51, v4, v9
	v_cvt_f32_f16_e32 v9, v9
	v_add_u32_e32 v7, s11, v7
	global_store_dword v[6:7], v8, off
	v_mul_f16_sdwa v4, v51, v4 dst_sel:DWORD dst_unused:UNUSED_PAD src0_sel:WORD_1 src1_sel:DWORD
	v_cvt_f64_f32_e32 v[8:9], v9
	v_mul_f64 v[8:9], v[8:9], s[2:3]
	v_and_or_b32 v8, v9, s6, v8
	v_cmp_ne_u32_e32 vcc, 0, v8
	v_lshrrev_b32_e32 v11, 8, v9
	v_bfe_u32 v12, v9, 20, 11
	v_cndmask_b32_e64 v8, 0, 1, vcc
	v_and_or_b32 v8, v11, s7, v8
	v_sub_u32_e32 v13, 0x3f1, v12
	v_or_b32_e32 v11, 0x1000, v8
	v_med3_i32 v13, v13, 0, 13
	v_lshrrev_b32_e32 v14, v13, v11
	v_lshlrev_b32_e32 v13, v13, v14
	v_cmp_ne_u32_e32 vcc, v13, v11
	v_add_u32_e32 v12, 0xfffffc10, v12
	v_lshl_or_b32 v13, v12, 12, v8
	v_cndmask_b32_e64 v11, 0, 1, vcc
	v_or_b32_e32 v11, v14, v11
	v_cmp_gt_i32_e32 vcc, 1, v12
	v_fma_f16 v4, v51, v10, -v4
	v_cvt_f32_f16_e32 v4, v4
	v_cndmask_b32_e32 v11, v13, v11, vcc
	v_and_b32_e32 v13, 7, v11
	v_cmp_lt_i32_e32 vcc, 5, v13
	v_cmp_eq_u32_e64 s[0:1], 3, v13
	v_lshrrev_b32_e32 v11, 2, v11
	s_or_b64 vcc, s[0:1], vcc
	v_addc_co_u32_e32 v11, vcc, 0, v11, vcc
	v_cmp_gt_i32_e32 vcc, 31, v12
	s_nop 1
	v_cndmask_b32_e32 v11, v2, v11, vcc
	v_cmp_ne_u32_e32 vcc, 0, v8
	s_nop 1
	v_cndmask_b32_e64 v8, 0, 1, vcc
	v_lshl_or_b32 v8, v8, 9, v2
	v_cmp_eq_u32_e32 vcc, s8, v12
	s_nop 1
	v_cndmask_b32_e32 v10, v11, v8, vcc
	v_and_b32_sdwa v11, v9, s9 dst_sel:DWORD dst_unused:UNUSED_PAD src0_sel:WORD_1 src1_sel:DWORD
	v_cvt_f64_f32_e32 v[8:9], v4
	v_mul_f64 v[8:9], v[8:9], s[2:3]
	v_and_or_b32 v4, v9, s6, v8
	v_cmp_ne_u32_e32 vcc, 0, v4
	v_lshrrev_b32_e32 v8, 8, v9
	v_bfe_u32 v12, v9, 20, 11
	v_cndmask_b32_e64 v4, 0, 1, vcc
	v_and_or_b32 v4, v8, s7, v4
	v_sub_u32_e32 v13, 0x3f1, v12
	v_or_b32_e32 v8, 0x1000, v4
	v_med3_i32 v13, v13, 0, 13
	v_lshrrev_b32_e32 v14, v13, v8
	v_lshlrev_b32_e32 v13, v13, v14
	v_cmp_ne_u32_e32 vcc, v13, v8
	v_add_u32_e32 v12, 0xfffffc10, v12
	v_lshl_or_b32 v13, v12, 12, v4
	v_cndmask_b32_e64 v8, 0, 1, vcc
	v_or_b32_e32 v8, v14, v8
	v_cmp_gt_i32_e32 vcc, 1, v12
	s_nop 1
	v_cndmask_b32_e32 v8, v13, v8, vcc
	v_and_b32_e32 v13, 7, v8
	v_cmp_lt_i32_e32 vcc, 5, v13
	v_cmp_eq_u32_e64 s[0:1], 3, v13
	v_lshrrev_b32_e32 v8, 2, v8
	s_or_b64 vcc, s[0:1], vcc
	v_addc_co_u32_e32 v8, vcc, 0, v8, vcc
	v_cmp_gt_i32_e32 vcc, 31, v12
	v_mad_u64_u32 v[6:7], s[0:1], s4, v3, v[6:7]
	s_nop 0
	v_cndmask_b32_e32 v8, v2, v8, vcc
	v_cmp_ne_u32_e32 vcc, 0, v4
	v_add_u32_e32 v7, s11, v7
	s_nop 0
	v_cndmask_b32_e64 v4, 0, 1, vcc
	v_lshl_or_b32 v4, v4, 9, v2
	v_cmp_eq_u32_e32 vcc, s8, v12
	s_nop 1
	v_cndmask_b32_e32 v4, v8, v4, vcc
	v_lshrrev_b32_e32 v8, 16, v9
	v_and_or_b32 v4, v8, s9, v4
	v_bitop3_b32 v8, v11, s10, v10 bitop3:0xc8
	v_lshrrev_b32_e32 v10, 16, v5
	v_lshl_or_b32 v4, v4, 16, v8
	v_mul_f16_sdwa v8, v52, v10 dst_sel:DWORD dst_unused:UNUSED_PAD src0_sel:WORD_1 src1_sel:DWORD
	v_fma_f16 v8, v52, v5, v8
	v_cvt_f32_f16_e32 v8, v8
	global_store_dword v[6:7], v4, off
	v_mul_f16_sdwa v5, v52, v5 dst_sel:DWORD dst_unused:UNUSED_PAD src0_sel:WORD_1 src1_sel:DWORD
	v_fma_f16 v5, v52, v10, -v5
	v_cvt_f64_f32_e32 v[8:9], v8
	v_mul_f64 v[8:9], v[8:9], s[2:3]
	v_and_or_b32 v4, v9, s6, v8
	v_cmp_ne_u32_e32 vcc, 0, v4
	v_lshrrev_b32_e32 v8, 8, v9
	v_bfe_u32 v11, v9, 20, 11
	v_cndmask_b32_e64 v4, 0, 1, vcc
	v_and_or_b32 v4, v8, s7, v4
	v_sub_u32_e32 v12, 0x3f1, v11
	v_or_b32_e32 v8, 0x1000, v4
	v_med3_i32 v12, v12, 0, 13
	v_lshrrev_b32_e32 v13, v12, v8
	v_lshlrev_b32_e32 v12, v12, v13
	v_cmp_ne_u32_e32 vcc, v12, v8
	v_add_u32_e32 v11, 0xfffffc10, v11
	v_lshl_or_b32 v12, v11, 12, v4
	v_cndmask_b32_e64 v8, 0, 1, vcc
	v_or_b32_e32 v8, v13, v8
	v_cmp_gt_i32_e32 vcc, 1, v11
	v_cvt_f32_f16_e32 v5, v5
	s_nop 0
	v_cndmask_b32_e32 v8, v12, v8, vcc
	v_and_b32_e32 v12, 7, v8
	v_cmp_lt_i32_e32 vcc, 5, v12
	v_cmp_eq_u32_e64 s[0:1], 3, v12
	v_lshrrev_b32_e32 v8, 2, v8
	s_or_b64 vcc, s[0:1], vcc
	v_addc_co_u32_e32 v8, vcc, 0, v8, vcc
	v_cmp_gt_i32_e32 vcc, 31, v11
	s_nop 1
	v_cndmask_b32_e32 v8, v2, v8, vcc
	v_cmp_ne_u32_e32 vcc, 0, v4
	s_nop 1
	v_cndmask_b32_e64 v4, 0, 1, vcc
	v_lshl_or_b32 v4, v4, 9, v2
	v_cmp_eq_u32_e32 vcc, s8, v11
	v_and_b32_sdwa v11, v9, s9 dst_sel:DWORD dst_unused:UNUSED_PAD src0_sel:WORD_1 src1_sel:DWORD
	s_nop 0
	v_cndmask_b32_e32 v10, v8, v4, vcc
	v_cvt_f64_f32_e32 v[4:5], v5
	v_mul_f64 v[4:5], v[4:5], s[2:3]
	v_and_or_b32 v4, v5, s6, v4
	v_cmp_ne_u32_e32 vcc, 0, v4
	v_lshrrev_b32_e32 v8, 8, v5
	v_bfe_u32 v9, v5, 20, 11
	v_cndmask_b32_e64 v4, 0, 1, vcc
	v_and_or_b32 v4, v8, s7, v4
	v_sub_u32_e32 v12, 0x3f1, v9
	v_or_b32_e32 v8, 0x1000, v4
	v_med3_i32 v12, v12, 0, 13
	v_lshrrev_b32_e32 v13, v12, v8
	v_lshlrev_b32_e32 v12, v12, v13
	v_cmp_ne_u32_e32 vcc, v12, v8
	v_add_u32_e32 v9, 0xfffffc10, v9
	v_lshl_or_b32 v12, v9, 12, v4
	v_cndmask_b32_e64 v8, 0, 1, vcc
	v_or_b32_e32 v8, v13, v8
	v_cmp_gt_i32_e32 vcc, 1, v9
	v_lshrrev_b32_e32 v5, 16, v5
	s_nop 0
	v_cndmask_b32_e32 v8, v12, v8, vcc
	v_and_b32_e32 v12, 7, v8
	v_cmp_lt_i32_e32 vcc, 5, v12
	v_cmp_eq_u32_e64 s[0:1], 3, v12
	v_lshrrev_b32_e32 v8, 2, v8
	s_or_b64 vcc, s[0:1], vcc
	v_addc_co_u32_e32 v8, vcc, 0, v8, vcc
	v_cmp_gt_i32_e32 vcc, 31, v9
	v_mad_u64_u32 v[6:7], s[0:1], s4, v3, v[6:7]
	s_nop 0
	v_cndmask_b32_e32 v8, v2, v8, vcc
	v_cmp_ne_u32_e32 vcc, 0, v4
	v_add_u32_e32 v7, s11, v7
	s_nop 0
	v_cndmask_b32_e64 v4, 0, 1, vcc
	v_lshl_or_b32 v4, v4, 9, v2
	v_cmp_eq_u32_e32 vcc, s8, v9
	s_nop 1
	v_cndmask_b32_e32 v4, v8, v4, vcc
	ds_read2_b32 v[8:9], v16 offset0:192 offset1:240
	v_and_or_b32 v4, v5, s9, v4
	v_bitop3_b32 v5, v11, s10, v10 bitop3:0xc8
	v_lshl_or_b32 v4, v4, 16, v5
	global_store_dword v[6:7], v4, off
	s_waitcnt lgkmcnt(0)
	v_lshrrev_b32_e32 v10, 16, v8
	v_mul_f16_sdwa v5, v50, v10 dst_sel:DWORD dst_unused:UNUSED_PAD src0_sel:WORD_1 src1_sel:DWORD
	v_fma_f16 v5, v50, v8, v5
	v_cvt_f32_f16_e32 v5, v5
	v_mul_f16_sdwa v8, v50, v8 dst_sel:DWORD dst_unused:UNUSED_PAD src0_sel:WORD_1 src1_sel:DWORD
	v_fma_f16 v8, v50, v10, -v8
	v_cvt_f32_f16_e32 v8, v8
	v_cvt_f64_f32_e32 v[4:5], v5
	v_mul_f64 v[4:5], v[4:5], s[2:3]
	v_and_or_b32 v4, v5, s6, v4
	v_cmp_ne_u32_e32 vcc, 0, v4
	v_lshrrev_b32_e32 v11, 8, v5
	v_bfe_u32 v12, v5, 20, 11
	v_cndmask_b32_e64 v4, 0, 1, vcc
	v_and_or_b32 v4, v11, s7, v4
	v_sub_u32_e32 v13, 0x3f1, v12
	v_or_b32_e32 v11, 0x1000, v4
	v_med3_i32 v13, v13, 0, 13
	v_lshrrev_b32_e32 v14, v13, v11
	v_lshlrev_b32_e32 v13, v13, v14
	v_cmp_ne_u32_e32 vcc, v13, v11
	v_add_u32_e32 v12, 0xfffffc10, v12
	v_lshl_or_b32 v13, v12, 12, v4
	v_cndmask_b32_e64 v11, 0, 1, vcc
	v_or_b32_e32 v11, v14, v11
	v_cmp_gt_i32_e32 vcc, 1, v12
	s_nop 1
	v_cndmask_b32_e32 v11, v13, v11, vcc
	v_and_b32_e32 v13, 7, v11
	v_cmp_lt_i32_e32 vcc, 5, v13
	v_cmp_eq_u32_e64 s[0:1], 3, v13
	v_lshrrev_b32_e32 v11, 2, v11
	s_or_b64 vcc, s[0:1], vcc
	v_addc_co_u32_e32 v11, vcc, 0, v11, vcc
	v_cmp_gt_i32_e32 vcc, 31, v12
	v_and_b32_sdwa v13, v5, s9 dst_sel:DWORD dst_unused:UNUSED_PAD src0_sel:WORD_1 src1_sel:DWORD
	s_nop 0
	v_cndmask_b32_e32 v11, v2, v11, vcc
	v_cmp_ne_u32_e32 vcc, 0, v4
	s_nop 1
	v_cndmask_b32_e64 v4, 0, 1, vcc
	v_lshl_or_b32 v4, v4, 9, v2
	v_cmp_eq_u32_e32 vcc, s8, v12
	s_nop 1
	v_cndmask_b32_e32 v12, v11, v4, vcc
	v_cvt_f64_f32_e32 v[4:5], v8
	v_mul_f64 v[4:5], v[4:5], s[2:3]
	v_and_or_b32 v4, v5, s6, v4
	v_cmp_ne_u32_e32 vcc, 0, v4
	v_lshrrev_b32_e32 v8, 8, v5
	v_bfe_u32 v10, v5, 20, 11
	v_cndmask_b32_e64 v4, 0, 1, vcc
	v_and_or_b32 v4, v8, s7, v4
	v_sub_u32_e32 v11, 0x3f1, v10
	v_or_b32_e32 v8, 0x1000, v4
	v_med3_i32 v11, v11, 0, 13
	v_lshrrev_b32_e32 v14, v11, v8
	v_lshlrev_b32_e32 v11, v11, v14
	v_cmp_ne_u32_e32 vcc, v11, v8
	v_add_u32_e32 v10, 0xfffffc10, v10
	v_lshl_or_b32 v11, v10, 12, v4
	v_cndmask_b32_e64 v8, 0, 1, vcc
	v_or_b32_e32 v8, v14, v8
	v_cmp_gt_i32_e32 vcc, 1, v10
	v_lshrrev_b32_e32 v5, 16, v5
	s_nop 0
	v_cndmask_b32_e32 v8, v11, v8, vcc
	v_and_b32_e32 v11, 7, v8
	v_cmp_lt_i32_e32 vcc, 5, v11
	v_cmp_eq_u32_e64 s[0:1], 3, v11
	v_lshrrev_b32_e32 v8, 2, v8
	s_or_b64 vcc, s[0:1], vcc
	v_addc_co_u32_e32 v8, vcc, 0, v8, vcc
	v_cmp_gt_i32_e32 vcc, 31, v10
	s_nop 1
	v_cndmask_b32_e32 v8, v2, v8, vcc
	v_cmp_ne_u32_e32 vcc, 0, v4
	s_nop 1
	v_cndmask_b32_e64 v4, 0, 1, vcc
	v_lshl_or_b32 v4, v4, 9, v2
	v_cmp_eq_u32_e32 vcc, s8, v10
	s_nop 1
	v_cndmask_b32_e32 v4, v8, v4, vcc
	v_and_or_b32 v14, v5, s9, v4
	v_mad_u64_u32 v[4:5], s[0:1], s4, v48, 0
	v_mov_b32_e32 v8, v5
	v_mad_u64_u32 v[10:11], s[0:1], s5, v48, v[8:9]
	v_mov_b32_e32 v5, v10
	v_lshrrev_b32_e32 v10, 16, v9
	v_mul_f16_sdwa v11, v49, v10 dst_sel:DWORD dst_unused:UNUSED_PAD src0_sel:WORD_1 src1_sel:DWORD
	v_fma_f16 v11, v49, v9, v11
	v_cvt_f32_f16_e32 v11, v11
	v_bitop3_b32 v8, v13, s10, v12 bitop3:0xc8
	v_lshl_or_b32 v8, v14, 16, v8
	v_lshl_add_u64 v[4:5], v[4:5], 2, v[0:1]
	global_store_dword v[4:5], v8, off
	v_cvt_f64_f32_e32 v[4:5], v11
	v_mul_f64 v[4:5], v[4:5], s[2:3]
	v_and_or_b32 v4, v5, s6, v4
	v_cmp_ne_u32_e32 vcc, 0, v4
	v_lshrrev_b32_e32 v8, 8, v5
	v_bfe_u32 v11, v5, 20, 11
	v_cndmask_b32_e64 v4, 0, 1, vcc
	v_and_or_b32 v4, v8, s7, v4
	v_sub_u32_e32 v12, 0x3f1, v11
	v_or_b32_e32 v8, 0x1000, v4
	v_med3_i32 v12, v12, 0, 13
	v_lshrrev_b32_e32 v13, v12, v8
	v_lshlrev_b32_e32 v12, v12, v13
	v_cmp_ne_u32_e32 vcc, v12, v8
	v_add_u32_e32 v11, 0xfffffc10, v11
	v_lshl_or_b32 v12, v11, 12, v4
	v_cndmask_b32_e64 v8, 0, 1, vcc
	v_or_b32_e32 v8, v13, v8
	v_cmp_gt_i32_e32 vcc, 1, v11
	v_mul_f16_sdwa v9, v49, v9 dst_sel:DWORD dst_unused:UNUSED_PAD src0_sel:WORD_1 src1_sel:DWORD
	v_fma_f16 v9, v49, v10, -v9
	v_cndmask_b32_e32 v8, v12, v8, vcc
	v_and_b32_e32 v12, 7, v8
	v_cmp_lt_i32_e32 vcc, 5, v12
	v_cmp_eq_u32_e64 s[0:1], 3, v12
	v_lshrrev_b32_e32 v8, 2, v8
	s_or_b64 vcc, s[0:1], vcc
	v_addc_co_u32_e32 v8, vcc, 0, v8, vcc
	v_cmp_gt_i32_e32 vcc, 31, v11
	v_cvt_f32_f16_e32 v9, v9
	v_and_b32_sdwa v10, v5, s9 dst_sel:DWORD dst_unused:UNUSED_PAD src0_sel:WORD_1 src1_sel:DWORD
	v_cndmask_b32_e32 v8, v2, v8, vcc
	v_cmp_ne_u32_e32 vcc, 0, v4
	s_nop 1
	v_cndmask_b32_e64 v4, 0, 1, vcc
	v_lshl_or_b32 v4, v4, 9, v2
	v_cmp_eq_u32_e32 vcc, s8, v11
	s_nop 1
	v_cndmask_b32_e32 v8, v8, v4, vcc
	v_cvt_f64_f32_e32 v[4:5], v9
	v_mul_f64 v[4:5], v[4:5], s[2:3]
	v_and_or_b32 v4, v5, s6, v4
	v_cmp_ne_u32_e32 vcc, 0, v4
	v_lshrrev_b32_e32 v9, 8, v5
	v_bfe_u32 v11, v5, 20, 11
	v_cndmask_b32_e64 v4, 0, 1, vcc
	v_and_or_b32 v4, v9, s7, v4
	v_sub_u32_e32 v12, 0x3f1, v11
	v_or_b32_e32 v9, 0x1000, v4
	v_med3_i32 v12, v12, 0, 13
	v_lshrrev_b32_e32 v13, v12, v9
	v_lshlrev_b32_e32 v12, v12, v13
	v_cmp_ne_u32_e32 vcc, v12, v9
	v_add_u32_e32 v11, 0xfffffc10, v11
	v_lshl_or_b32 v12, v11, 12, v4
	v_cndmask_b32_e64 v9, 0, 1, vcc
	v_or_b32_e32 v9, v13, v9
	v_cmp_gt_i32_e32 vcc, 1, v11
	v_lshrrev_b32_e32 v5, 16, v5
	s_nop 0
	v_cndmask_b32_e32 v9, v12, v9, vcc
	v_and_b32_e32 v12, 7, v9
	v_cmp_lt_i32_e32 vcc, 5, v12
	v_cmp_eq_u32_e64 s[0:1], 3, v12
	v_lshrrev_b32_e32 v9, 2, v9
	s_or_b64 vcc, s[0:1], vcc
	v_addc_co_u32_e32 v9, vcc, 0, v9, vcc
	v_cmp_gt_i32_e32 vcc, 31, v11
	s_nop 1
	v_cndmask_b32_e32 v9, v2, v9, vcc
	v_cmp_ne_u32_e32 vcc, 0, v4
	s_nop 1
	v_cndmask_b32_e64 v4, 0, 1, vcc
	v_lshl_or_b32 v4, v4, 9, v2
	v_cmp_eq_u32_e32 vcc, s8, v11
	s_nop 1
	v_cndmask_b32_e32 v4, v9, v4, vcc
	v_and_or_b32 v4, v5, s9, v4
	v_bitop3_b32 v5, v10, s10, v8 bitop3:0xc8
	ds_read2_b32 v[8:9], v24 offset0:32 offset1:80
	v_lshl_or_b32 v5, v4, 16, v5
	v_mov_b32_e32 v4, 0x180
	v_mad_u64_u32 v[6:7], s[0:1], s4, v4, v[6:7]
	s_waitcnt lgkmcnt(0)
	v_lshrrev_b32_e32 v12, 16, v8
	v_mul_f16_sdwa v10, v47, v12 dst_sel:DWORD dst_unused:UNUSED_PAD src0_sel:WORD_1 src1_sel:DWORD
	v_fma_f16 v10, v47, v8, v10
	v_cvt_f32_f16_e32 v10, v10
	v_add_u32_e32 v7, s12, v7
	global_store_dword v[6:7], v5, off
	v_mul_f16_sdwa v8, v47, v8 dst_sel:DWORD dst_unused:UNUSED_PAD src0_sel:WORD_1 src1_sel:DWORD
	v_cvt_f64_f32_e32 v[10:11], v10
	v_mul_f64 v[10:11], v[10:11], s[2:3]
	v_and_or_b32 v5, v11, s6, v10
	v_cmp_ne_u32_e32 vcc, 0, v5
	v_lshrrev_b32_e32 v10, 8, v11
	v_bfe_u32 v13, v11, 20, 11
	v_cndmask_b32_e64 v5, 0, 1, vcc
	v_and_or_b32 v5, v10, s7, v5
	v_sub_u32_e32 v14, 0x3f1, v13
	v_or_b32_e32 v10, 0x1000, v5
	v_med3_i32 v14, v14, 0, 13
	v_lshrrev_b32_e32 v16, v14, v10
	v_lshlrev_b32_e32 v14, v14, v16
	v_cmp_ne_u32_e32 vcc, v14, v10
	v_add_u32_e32 v13, 0xfffffc10, v13
	v_lshl_or_b32 v14, v13, 12, v5
	v_cndmask_b32_e64 v10, 0, 1, vcc
	v_or_b32_e32 v10, v16, v10
	v_cmp_gt_i32_e32 vcc, 1, v13
	v_fma_f16 v8, v47, v12, -v8
	v_cvt_f32_f16_e32 v8, v8
	v_cndmask_b32_e32 v10, v14, v10, vcc
	v_and_b32_e32 v14, 7, v10
	v_cmp_lt_i32_e32 vcc, 5, v14
	v_cmp_eq_u32_e64 s[0:1], 3, v14
	v_lshrrev_b32_e32 v10, 2, v10
	s_or_b64 vcc, s[0:1], vcc
	v_addc_co_u32_e32 v10, vcc, 0, v10, vcc
	v_cmp_gt_i32_e32 vcc, 31, v13
	v_and_b32_sdwa v12, v11, s9 dst_sel:DWORD dst_unused:UNUSED_PAD src0_sel:WORD_1 src1_sel:DWORD
	s_nop 0
	v_cndmask_b32_e32 v10, v2, v10, vcc
	v_cmp_ne_u32_e32 vcc, 0, v5
	s_nop 1
	v_cndmask_b32_e64 v5, 0, 1, vcc
	v_lshl_or_b32 v5, v5, 9, v2
	v_cmp_eq_u32_e32 vcc, s8, v13
	s_nop 1
	v_cndmask_b32_e32 v5, v10, v5, vcc
	v_cvt_f64_f32_e32 v[10:11], v8
	v_mul_f64 v[10:11], v[10:11], s[2:3]
	v_and_or_b32 v8, v11, s6, v10
	v_cmp_ne_u32_e32 vcc, 0, v8
	v_lshrrev_b32_e32 v10, 8, v11
	v_bfe_u32 v13, v11, 20, 11
	v_cndmask_b32_e64 v8, 0, 1, vcc
	v_and_or_b32 v8, v10, s7, v8
	v_sub_u32_e32 v14, 0x3f1, v13
	v_or_b32_e32 v10, 0x1000, v8
	v_med3_i32 v14, v14, 0, 13
	v_lshrrev_b32_e32 v16, v14, v10
	v_lshlrev_b32_e32 v14, v14, v16
	v_cmp_ne_u32_e32 vcc, v14, v10
	v_add_u32_e32 v13, 0xfffffc10, v13
	v_lshl_or_b32 v14, v13, 12, v8
	v_cndmask_b32_e64 v10, 0, 1, vcc
	v_or_b32_e32 v10, v16, v10
	v_cmp_gt_i32_e32 vcc, 1, v13
	v_bitop3_b32 v5, v12, s10, v5 bitop3:0xc8
	s_nop 0
	v_cndmask_b32_e32 v10, v14, v10, vcc
	v_and_b32_e32 v14, 7, v10
	v_cmp_lt_i32_e32 vcc, 5, v14
	v_cmp_eq_u32_e64 s[0:1], 3, v14
	v_lshrrev_b32_e32 v10, 2, v10
	s_or_b64 vcc, s[0:1], vcc
	v_addc_co_u32_e32 v10, vcc, 0, v10, vcc
	v_cmp_gt_i32_e32 vcc, 31, v13
	v_mad_u64_u32 v[6:7], s[0:1], s4, v3, v[6:7]
	s_nop 0
	v_cndmask_b32_e32 v10, v2, v10, vcc
	v_cmp_ne_u32_e32 vcc, 0, v8
	v_add_u32_e32 v7, s11, v7
	s_nop 0
	v_cndmask_b32_e64 v8, 0, 1, vcc
	v_lshl_or_b32 v8, v8, 9, v2
	v_cmp_eq_u32_e32 vcc, s8, v13
	s_nop 1
	v_cndmask_b32_e32 v8, v10, v8, vcc
	v_lshrrev_b32_e32 v10, 16, v11
	v_and_or_b32 v8, v10, s9, v8
	v_lshl_or_b32 v5, v8, 16, v5
	v_lshrrev_b32_e32 v8, 16, v9
	v_mul_f16_sdwa v10, v46, v8 dst_sel:DWORD dst_unused:UNUSED_PAD src0_sel:WORD_1 src1_sel:DWORD
	v_fma_f16 v10, v46, v9, v10
	v_cvt_f32_f16_e32 v10, v10
	global_store_dword v[6:7], v5, off
	v_mul_f16_sdwa v9, v46, v9 dst_sel:DWORD dst_unused:UNUSED_PAD src0_sel:WORD_1 src1_sel:DWORD
	v_fma_f16 v8, v46, v8, -v9
	v_cvt_f64_f32_e32 v[10:11], v10
	v_mul_f64 v[10:11], v[10:11], s[2:3]
	v_and_or_b32 v5, v11, s6, v10
	v_cmp_ne_u32_e32 vcc, 0, v5
	v_lshrrev_b32_e32 v10, 8, v11
	v_bfe_u32 v12, v11, 20, 11
	v_cndmask_b32_e64 v5, 0, 1, vcc
	v_and_or_b32 v5, v10, s7, v5
	v_sub_u32_e32 v13, 0x3f1, v12
	v_or_b32_e32 v10, 0x1000, v5
	v_med3_i32 v13, v13, 0, 13
	v_lshrrev_b32_e32 v14, v13, v10
	v_lshlrev_b32_e32 v13, v13, v14
	v_cmp_ne_u32_e32 vcc, v13, v10
	v_add_u32_e32 v12, 0xfffffc10, v12
	v_lshl_or_b32 v13, v12, 12, v5
	v_cndmask_b32_e64 v10, 0, 1, vcc
	v_or_b32_e32 v10, v14, v10
	v_cmp_gt_i32_e32 vcc, 1, v12
	v_cvt_f32_f16_e32 v8, v8
	v_cvt_f64_f32_e32 v[8:9], v8
	v_cndmask_b32_e32 v10, v13, v10, vcc
	v_and_b32_e32 v13, 7, v10
	v_cmp_lt_i32_e32 vcc, 5, v13
	v_cmp_eq_u32_e64 s[0:1], 3, v13
	v_lshrrev_b32_e32 v10, 2, v10
	s_or_b64 vcc, s[0:1], vcc
	v_addc_co_u32_e32 v10, vcc, 0, v10, vcc
	v_cmp_gt_i32_e32 vcc, 31, v12
	v_mul_f64 v[8:9], v[8:9], s[2:3]
	v_and_or_b32 v8, v9, s6, v8
	v_cndmask_b32_e32 v10, v2, v10, vcc
	v_cmp_ne_u32_e32 vcc, 0, v5
	s_nop 1
	v_cndmask_b32_e64 v5, 0, 1, vcc
	v_lshl_or_b32 v5, v5, 9, v2
	v_cmp_eq_u32_e32 vcc, s8, v12
	v_and_b32_sdwa v12, v11, s9 dst_sel:DWORD dst_unused:UNUSED_PAD src0_sel:WORD_1 src1_sel:DWORD
	v_bfe_u32 v11, v9, 20, 11
	v_cndmask_b32_e32 v5, v10, v5, vcc
	v_cmp_ne_u32_e32 vcc, 0, v8
	v_lshrrev_b32_e32 v10, 8, v9
	v_sub_u32_e32 v13, 0x3f1, v11
	v_cndmask_b32_e64 v8, 0, 1, vcc
	v_and_or_b32 v8, v10, s7, v8
	v_or_b32_e32 v10, 0x1000, v8
	v_med3_i32 v13, v13, 0, 13
	v_lshrrev_b32_e32 v14, v13, v10
	v_lshlrev_b32_e32 v13, v13, v14
	v_cmp_ne_u32_e32 vcc, v13, v10
	v_add_u32_e32 v11, 0xfffffc10, v11
	v_lshl_or_b32 v13, v11, 12, v8
	v_cndmask_b32_e64 v10, 0, 1, vcc
	v_or_b32_e32 v10, v14, v10
	v_cmp_gt_i32_e32 vcc, 1, v11
	v_lshrrev_b32_e32 v9, 16, v9
	v_bitop3_b32 v5, v12, s10, v5 bitop3:0xc8
	v_cndmask_b32_e32 v10, v13, v10, vcc
	v_and_b32_e32 v13, 7, v10
	v_cmp_lt_i32_e32 vcc, 5, v13
	v_cmp_eq_u32_e64 s[0:1], 3, v13
	v_lshrrev_b32_e32 v10, 2, v10
	s_or_b64 vcc, s[0:1], vcc
	v_addc_co_u32_e32 v10, vcc, 0, v10, vcc
	v_cmp_gt_i32_e32 vcc, 31, v11
	v_mad_u64_u32 v[6:7], s[0:1], s4, v3, v[6:7]
	s_nop 0
	v_cndmask_b32_e32 v10, v2, v10, vcc
	v_cmp_ne_u32_e32 vcc, 0, v8
	v_add_u32_e32 v7, s11, v7
	s_nop 0
	v_cndmask_b32_e64 v8, 0, 1, vcc
	v_lshl_or_b32 v8, v8, 9, v2
	v_cmp_eq_u32_e32 vcc, s8, v11
	s_nop 1
	v_cndmask_b32_e32 v8, v10, v8, vcc
	ds_read2_b32 v[10:11], v24 offset0:128 offset1:176
	v_and_or_b32 v8, v9, s9, v8
	v_lshl_or_b32 v5, v8, 16, v5
	global_store_dword v[6:7], v5, off
	s_waitcnt lgkmcnt(0)
	v_lshrrev_b32_e32 v12, 16, v10
	v_mul_f16_sdwa v8, v45, v12 dst_sel:DWORD dst_unused:UNUSED_PAD src0_sel:WORD_1 src1_sel:DWORD
	v_fma_f16 v8, v45, v10, v8
	v_cvt_f32_f16_e32 v8, v8
	v_mul_f16_sdwa v10, v45, v10 dst_sel:DWORD dst_unused:UNUSED_PAD src0_sel:WORD_1 src1_sel:DWORD
	v_fma_f16 v10, v45, v12, -v10
	v_cvt_f32_f16_e32 v10, v10
	v_cvt_f64_f32_e32 v[8:9], v8
	v_mul_f64 v[8:9], v[8:9], s[2:3]
	v_and_or_b32 v5, v9, s6, v8
	v_cmp_ne_u32_e32 vcc, 0, v5
	v_lshrrev_b32_e32 v8, 8, v9
	v_bfe_u32 v13, v9, 20, 11
	v_cndmask_b32_e64 v5, 0, 1, vcc
	v_and_or_b32 v5, v8, s7, v5
	v_sub_u32_e32 v14, 0x3f1, v13
	v_or_b32_e32 v8, 0x1000, v5
	v_med3_i32 v14, v14, 0, 13
	v_lshrrev_b32_e32 v16, v14, v8
	v_lshlrev_b32_e32 v14, v14, v16
	v_cmp_ne_u32_e32 vcc, v14, v8
	v_add_u32_e32 v13, 0xfffffc10, v13
	v_lshl_or_b32 v14, v13, 12, v5
	v_cndmask_b32_e64 v8, 0, 1, vcc
	v_or_b32_e32 v8, v16, v8
	v_cmp_gt_i32_e32 vcc, 1, v13
	s_nop 1
	v_cndmask_b32_e32 v8, v14, v8, vcc
	v_and_b32_e32 v14, 7, v8
	v_cmp_lt_i32_e32 vcc, 5, v14
	v_cmp_eq_u32_e64 s[0:1], 3, v14
	v_lshrrev_b32_e32 v8, 2, v8
	s_or_b64 vcc, s[0:1], vcc
	v_addc_co_u32_e32 v8, vcc, 0, v8, vcc
	v_cmp_gt_i32_e32 vcc, 31, v13
	v_and_b32_sdwa v14, v9, s9 dst_sel:DWORD dst_unused:UNUSED_PAD src0_sel:WORD_1 src1_sel:DWORD
	s_nop 0
	v_cndmask_b32_e32 v8, v2, v8, vcc
	v_cmp_ne_u32_e32 vcc, 0, v5
	s_nop 1
	v_cndmask_b32_e64 v5, 0, 1, vcc
	v_lshl_or_b32 v5, v5, 9, v2
	v_cmp_eq_u32_e32 vcc, s8, v13
	s_nop 1
	v_cndmask_b32_e32 v5, v8, v5, vcc
	v_cvt_f64_f32_e32 v[8:9], v10
	v_mul_f64 v[8:9], v[8:9], s[2:3]
	v_and_or_b32 v8, v9, s6, v8
	v_cmp_ne_u32_e32 vcc, 0, v8
	v_lshrrev_b32_e32 v10, 8, v9
	v_bfe_u32 v12, v9, 20, 11
	v_cndmask_b32_e64 v8, 0, 1, vcc
	v_and_or_b32 v8, v10, s7, v8
	v_sub_u32_e32 v13, 0x3f1, v12
	v_or_b32_e32 v10, 0x1000, v8
	v_med3_i32 v13, v13, 0, 13
	v_lshrrev_b32_e32 v16, v13, v10
	v_lshlrev_b32_e32 v13, v13, v16
	v_cmp_ne_u32_e32 vcc, v13, v10
	v_add_u32_e32 v12, 0xfffffc10, v12
	v_lshl_or_b32 v13, v12, 12, v8
	v_cndmask_b32_e64 v10, 0, 1, vcc
	v_or_b32_e32 v10, v16, v10
	v_cmp_gt_i32_e32 vcc, 1, v12
	v_lshrrev_b32_e32 v9, 16, v9
	v_bitop3_b32 v5, v14, s10, v5 bitop3:0xc8
	v_cndmask_b32_e32 v10, v13, v10, vcc
	v_and_b32_e32 v13, 7, v10
	v_cmp_lt_i32_e32 vcc, 5, v13
	v_cmp_eq_u32_e64 s[0:1], 3, v13
	v_lshrrev_b32_e32 v10, 2, v10
	s_or_b64 vcc, s[0:1], vcc
	v_addc_co_u32_e32 v10, vcc, 0, v10, vcc
	v_cmp_gt_i32_e32 vcc, 31, v12
	s_nop 1
	v_cndmask_b32_e32 v10, v2, v10, vcc
	v_cmp_ne_u32_e32 vcc, 0, v8
	s_nop 1
	v_cndmask_b32_e64 v8, 0, 1, vcc
	v_lshl_or_b32 v8, v8, 9, v2
	v_cmp_eq_u32_e32 vcc, s8, v12
	s_nop 1
	v_cndmask_b32_e32 v8, v10, v8, vcc
	v_and_or_b32 v16, v9, s9, v8
	v_mad_u64_u32 v[8:9], s[0:1], s4, v43, 0
	v_mov_b32_e32 v10, v9
	v_mad_u64_u32 v[12:13], s[0:1], s5, v43, v[10:11]
	v_lshrrev_b32_e32 v10, 16, v11
	v_mov_b32_e32 v9, v12
	v_mul_f16_sdwa v12, v44, v10 dst_sel:DWORD dst_unused:UNUSED_PAD src0_sel:WORD_1 src1_sel:DWORD
	v_fma_f16 v12, v44, v11, v12
	v_cvt_f32_f16_e32 v12, v12
	v_lshl_or_b32 v5, v16, 16, v5
	v_lshl_add_u64 v[8:9], v[8:9], 2, v[0:1]
	global_store_dword v[8:9], v5, off
	v_cvt_f64_f32_e32 v[8:9], v12
	v_mul_f64 v[8:9], v[8:9], s[2:3]
	v_and_or_b32 v5, v9, s6, v8
	v_cmp_ne_u32_e32 vcc, 0, v5
	v_lshrrev_b32_e32 v8, 8, v9
	v_bfe_u32 v12, v9, 20, 11
	v_cndmask_b32_e64 v5, 0, 1, vcc
	v_and_or_b32 v5, v8, s7, v5
	v_sub_u32_e32 v13, 0x3f1, v12
	v_or_b32_e32 v8, 0x1000, v5
	v_med3_i32 v13, v13, 0, 13
	v_lshrrev_b32_e32 v14, v13, v8
	v_lshlrev_b32_e32 v13, v13, v14
	v_cmp_ne_u32_e32 vcc, v13, v8
	v_add_u32_e32 v12, 0xfffffc10, v12
	v_lshl_or_b32 v13, v12, 12, v5
	v_cndmask_b32_e64 v8, 0, 1, vcc
	v_or_b32_e32 v8, v14, v8
	v_cmp_gt_i32_e32 vcc, 1, v12
	v_mul_f16_sdwa v11, v44, v11 dst_sel:DWORD dst_unused:UNUSED_PAD src0_sel:WORD_1 src1_sel:DWORD
	v_fma_f16 v10, v44, v10, -v11
	v_cndmask_b32_e32 v8, v13, v8, vcc
	v_and_b32_e32 v13, 7, v8
	v_cmp_lt_i32_e32 vcc, 5, v13
	v_cmp_eq_u32_e64 s[0:1], 3, v13
	v_lshrrev_b32_e32 v8, 2, v8
	s_or_b64 vcc, s[0:1], vcc
	v_addc_co_u32_e32 v8, vcc, 0, v8, vcc
	v_cmp_gt_i32_e32 vcc, 31, v12
	v_cvt_f32_f16_e32 v10, v10
	s_nop 0
	v_cndmask_b32_e32 v8, v2, v8, vcc
	v_cmp_ne_u32_e32 vcc, 0, v5
	s_nop 1
	v_cndmask_b32_e64 v5, 0, 1, vcc
	v_lshl_or_b32 v5, v5, 9, v2
	v_cmp_eq_u32_e32 vcc, s8, v12
	v_and_b32_sdwa v12, v9, s9 dst_sel:DWORD dst_unused:UNUSED_PAD src0_sel:WORD_1 src1_sel:DWORD
	s_nop 0
	v_cndmask_b32_e32 v5, v8, v5, vcc
	v_cvt_f64_f32_e32 v[8:9], v10
	v_mul_f64 v[8:9], v[8:9], s[2:3]
	v_and_or_b32 v8, v9, s6, v8
	v_cmp_ne_u32_e32 vcc, 0, v8
	v_lshrrev_b32_e32 v10, 8, v9
	v_bfe_u32 v11, v9, 20, 11
	v_cndmask_b32_e64 v8, 0, 1, vcc
	v_and_or_b32 v8, v10, s7, v8
	v_sub_u32_e32 v13, 0x3f1, v11
	v_or_b32_e32 v10, 0x1000, v8
	v_med3_i32 v13, v13, 0, 13
	v_lshrrev_b32_e32 v14, v13, v10
	v_lshlrev_b32_e32 v13, v13, v14
	v_cmp_ne_u32_e32 vcc, v13, v10
	v_add_u32_e32 v11, 0xfffffc10, v11
	v_lshl_or_b32 v13, v11, 12, v8
	v_cndmask_b32_e64 v10, 0, 1, vcc
	v_or_b32_e32 v10, v14, v10
	v_cmp_gt_i32_e32 vcc, 1, v11
	v_lshrrev_b32_e32 v9, 16, v9
	v_bitop3_b32 v5, v12, s10, v5 bitop3:0xc8
	v_cndmask_b32_e32 v10, v13, v10, vcc
	v_and_b32_e32 v13, 7, v10
	v_cmp_lt_i32_e32 vcc, 5, v13
	v_cmp_eq_u32_e64 s[0:1], 3, v13
	v_lshrrev_b32_e32 v10, 2, v10
	s_or_b64 vcc, s[0:1], vcc
	v_addc_co_u32_e32 v10, vcc, 0, v10, vcc
	v_cmp_gt_i32_e32 vcc, 31, v11
	v_mad_u64_u32 v[6:7], s[0:1], s4, v4, v[6:7]
	s_nop 0
	v_cndmask_b32_e32 v10, v2, v10, vcc
	v_cmp_ne_u32_e32 vcc, 0, v8
	v_add_u32_e32 v7, s12, v7
	s_nop 0
	v_cndmask_b32_e64 v8, 0, 1, vcc
	v_lshl_or_b32 v8, v8, 9, v2
	v_cmp_eq_u32_e32 vcc, s8, v11
	s_nop 1
	v_cndmask_b32_e32 v8, v10, v8, vcc
	ds_read2_b32 v[10:11], v17 offset0:96 offset1:144
	v_and_or_b32 v8, v9, s9, v8
	v_lshl_or_b32 v5, v8, 16, v5
	global_store_dword v[6:7], v5, off
	s_waitcnt lgkmcnt(0)
	v_lshrrev_b32_e32 v12, 16, v10
	v_mul_f16_sdwa v8, v42, v12 dst_sel:DWORD dst_unused:UNUSED_PAD src0_sel:WORD_1 src1_sel:DWORD
	v_fma_f16 v8, v42, v10, v8
	v_cvt_f32_f16_e32 v8, v8
	v_mul_f16_sdwa v10, v42, v10 dst_sel:DWORD dst_unused:UNUSED_PAD src0_sel:WORD_1 src1_sel:DWORD
	v_fma_f16 v10, v42, v12, -v10
	v_cvt_f32_f16_e32 v10, v10
	v_cvt_f64_f32_e32 v[8:9], v8
	v_mul_f64 v[8:9], v[8:9], s[2:3]
	v_and_or_b32 v5, v9, s6, v8
	v_cmp_ne_u32_e32 vcc, 0, v5
	v_lshrrev_b32_e32 v8, 8, v9
	v_bfe_u32 v13, v9, 20, 11
	v_cndmask_b32_e64 v5, 0, 1, vcc
	v_and_or_b32 v5, v8, s7, v5
	v_sub_u32_e32 v14, 0x3f1, v13
	v_or_b32_e32 v8, 0x1000, v5
	v_med3_i32 v14, v14, 0, 13
	v_lshrrev_b32_e32 v16, v14, v8
	v_lshlrev_b32_e32 v14, v14, v16
	v_cmp_ne_u32_e32 vcc, v14, v8
	v_add_u32_e32 v13, 0xfffffc10, v13
	v_lshl_or_b32 v14, v13, 12, v5
	v_cndmask_b32_e64 v8, 0, 1, vcc
	v_or_b32_e32 v8, v16, v8
	v_cmp_gt_i32_e32 vcc, 1, v13
	v_and_b32_sdwa v12, v9, s9 dst_sel:DWORD dst_unused:UNUSED_PAD src0_sel:WORD_1 src1_sel:DWORD
	s_nop 0
	v_cndmask_b32_e32 v8, v14, v8, vcc
	v_and_b32_e32 v14, 7, v8
	v_cmp_lt_i32_e32 vcc, 5, v14
	v_cmp_eq_u32_e64 s[0:1], 3, v14
	v_lshrrev_b32_e32 v8, 2, v8
	s_or_b64 vcc, s[0:1], vcc
	v_addc_co_u32_e32 v8, vcc, 0, v8, vcc
	v_cmp_gt_i32_e32 vcc, 31, v13
	s_nop 1
	v_cndmask_b32_e32 v8, v2, v8, vcc
	v_cmp_ne_u32_e32 vcc, 0, v5
	s_nop 1
	v_cndmask_b32_e64 v5, 0, 1, vcc
	v_lshl_or_b32 v5, v5, 9, v2
	v_cmp_eq_u32_e32 vcc, s8, v13
	s_nop 1
	v_cndmask_b32_e32 v5, v8, v5, vcc
	v_cvt_f64_f32_e32 v[8:9], v10
	v_mul_f64 v[8:9], v[8:9], s[2:3]
	v_and_or_b32 v8, v9, s6, v8
	v_cmp_ne_u32_e32 vcc, 0, v8
	v_lshrrev_b32_e32 v10, 8, v9
	v_bfe_u32 v13, v9, 20, 11
	v_cndmask_b32_e64 v8, 0, 1, vcc
	v_and_or_b32 v8, v10, s7, v8
	v_sub_u32_e32 v14, 0x3f1, v13
	v_or_b32_e32 v10, 0x1000, v8
	v_med3_i32 v14, v14, 0, 13
	v_lshrrev_b32_e32 v16, v14, v10
	v_lshlrev_b32_e32 v14, v14, v16
	v_cmp_ne_u32_e32 vcc, v14, v10
	v_add_u32_e32 v13, 0xfffffc10, v13
	v_lshl_or_b32 v14, v13, 12, v8
	v_cndmask_b32_e64 v10, 0, 1, vcc
	v_or_b32_e32 v10, v16, v10
	v_cmp_gt_i32_e32 vcc, 1, v13
	v_lshrrev_b32_e32 v9, 16, v9
	v_bitop3_b32 v5, v12, s10, v5 bitop3:0xc8
	v_cndmask_b32_e32 v10, v14, v10, vcc
	v_and_b32_e32 v14, 7, v10
	v_cmp_lt_i32_e32 vcc, 5, v14
	v_cmp_eq_u32_e64 s[0:1], 3, v14
	v_lshrrev_b32_e32 v10, 2, v10
	s_or_b64 vcc, s[0:1], vcc
	v_addc_co_u32_e32 v10, vcc, 0, v10, vcc
	v_cmp_gt_i32_e32 vcc, 31, v13
	v_mad_u64_u32 v[6:7], s[0:1], s4, v3, v[6:7]
	s_nop 0
	v_cndmask_b32_e32 v10, v2, v10, vcc
	v_cmp_ne_u32_e32 vcc, 0, v8
	v_add_u32_e32 v7, s11, v7
	s_nop 0
	v_cndmask_b32_e64 v8, 0, 1, vcc
	v_lshl_or_b32 v8, v8, 9, v2
	v_cmp_eq_u32_e32 vcc, s8, v13
	s_nop 1
	v_cndmask_b32_e32 v8, v10, v8, vcc
	v_and_or_b32 v8, v9, s9, v8
	v_lshrrev_b32_e32 v10, 16, v11
	v_lshl_or_b32 v5, v8, 16, v5
	v_mul_f16_sdwa v8, v41, v10 dst_sel:DWORD dst_unused:UNUSED_PAD src0_sel:WORD_1 src1_sel:DWORD
	v_fma_f16 v8, v41, v11, v8
	v_cvt_f32_f16_e32 v8, v8
	global_store_dword v[6:7], v5, off
	v_mul_f16_sdwa v11, v41, v11 dst_sel:DWORD dst_unused:UNUSED_PAD src0_sel:WORD_1 src1_sel:DWORD
	v_fma_f16 v10, v41, v10, -v11
	v_cvt_f64_f32_e32 v[8:9], v8
	v_mul_f64 v[8:9], v[8:9], s[2:3]
	v_and_or_b32 v5, v9, s6, v8
	v_cmp_ne_u32_e32 vcc, 0, v5
	v_lshrrev_b32_e32 v8, 8, v9
	v_bfe_u32 v12, v9, 20, 11
	v_cndmask_b32_e64 v5, 0, 1, vcc
	v_and_or_b32 v5, v8, s7, v5
	v_sub_u32_e32 v13, 0x3f1, v12
	v_or_b32_e32 v8, 0x1000, v5
	v_med3_i32 v13, v13, 0, 13
	v_lshrrev_b32_e32 v14, v13, v8
	v_lshlrev_b32_e32 v13, v13, v14
	v_cmp_ne_u32_e32 vcc, v13, v8
	v_add_u32_e32 v12, 0xfffffc10, v12
	v_lshl_or_b32 v13, v12, 12, v5
	v_cndmask_b32_e64 v8, 0, 1, vcc
	v_or_b32_e32 v8, v14, v8
	v_cmp_gt_i32_e32 vcc, 1, v12
	v_cvt_f32_f16_e32 v10, v10
	s_nop 0
	v_cndmask_b32_e32 v8, v13, v8, vcc
	v_and_b32_e32 v13, 7, v8
	v_cmp_lt_i32_e32 vcc, 5, v13
	v_cmp_eq_u32_e64 s[0:1], 3, v13
	v_lshrrev_b32_e32 v8, 2, v8
	s_or_b64 vcc, s[0:1], vcc
	v_addc_co_u32_e32 v8, vcc, 0, v8, vcc
	v_cmp_gt_i32_e32 vcc, 31, v12
	s_nop 1
	v_cndmask_b32_e32 v8, v2, v8, vcc
	v_cmp_ne_u32_e32 vcc, 0, v5
	s_nop 1
	v_cndmask_b32_e64 v5, 0, 1, vcc
	v_lshl_or_b32 v5, v5, 9, v2
	v_cmp_eq_u32_e32 vcc, s8, v12
	v_and_b32_sdwa v12, v9, s9 dst_sel:DWORD dst_unused:UNUSED_PAD src0_sel:WORD_1 src1_sel:DWORD
	s_nop 0
	v_cndmask_b32_e32 v5, v8, v5, vcc
	v_cvt_f64_f32_e32 v[8:9], v10
	v_mul_f64 v[8:9], v[8:9], s[2:3]
	v_and_or_b32 v8, v9, s6, v8
	v_cmp_ne_u32_e32 vcc, 0, v8
	v_lshrrev_b32_e32 v10, 8, v9
	v_bfe_u32 v11, v9, 20, 11
	v_cndmask_b32_e64 v8, 0, 1, vcc
	v_and_or_b32 v8, v10, s7, v8
	v_sub_u32_e32 v13, 0x3f1, v11
	v_or_b32_e32 v10, 0x1000, v8
	v_med3_i32 v13, v13, 0, 13
	v_lshrrev_b32_e32 v14, v13, v10
	v_lshlrev_b32_e32 v13, v13, v14
	v_cmp_ne_u32_e32 vcc, v13, v10
	v_add_u32_e32 v11, 0xfffffc10, v11
	v_lshl_or_b32 v13, v11, 12, v8
	v_cndmask_b32_e64 v10, 0, 1, vcc
	v_or_b32_e32 v10, v14, v10
	v_cmp_gt_i32_e32 vcc, 1, v11
	v_lshrrev_b32_e32 v9, 16, v9
	v_bitop3_b32 v5, v12, s10, v5 bitop3:0xc8
	v_cndmask_b32_e32 v10, v13, v10, vcc
	v_and_b32_e32 v13, 7, v10
	v_cmp_lt_i32_e32 vcc, 5, v13
	v_cmp_eq_u32_e64 s[0:1], 3, v13
	v_lshrrev_b32_e32 v10, 2, v10
	s_or_b64 vcc, s[0:1], vcc
	v_addc_co_u32_e32 v10, vcc, 0, v10, vcc
	v_cmp_gt_i32_e32 vcc, 31, v11
	v_mad_u64_u32 v[6:7], s[0:1], s4, v3, v[6:7]
	s_nop 0
	v_cndmask_b32_e32 v10, v2, v10, vcc
	v_cmp_ne_u32_e32 vcc, 0, v8
	v_add_u32_e32 v7, s11, v7
	s_nop 0
	v_cndmask_b32_e64 v8, 0, 1, vcc
	v_lshl_or_b32 v8, v8, 9, v2
	v_cmp_eq_u32_e32 vcc, s8, v11
	s_nop 1
	v_cndmask_b32_e32 v8, v10, v8, vcc
	ds_read2_b32 v[10:11], v15 offset0:64 offset1:112
	v_and_or_b32 v8, v9, s9, v8
	v_lshl_or_b32 v5, v8, 16, v5
	global_store_dword v[6:7], v5, off
	s_waitcnt lgkmcnt(0)
	v_lshrrev_b32_e32 v12, 16, v10
	v_mul_f16_sdwa v8, v40, v12 dst_sel:DWORD dst_unused:UNUSED_PAD src0_sel:WORD_1 src1_sel:DWORD
	v_fma_f16 v8, v40, v10, v8
	v_cvt_f32_f16_e32 v8, v8
	v_mul_f16_sdwa v10, v40, v10 dst_sel:DWORD dst_unused:UNUSED_PAD src0_sel:WORD_1 src1_sel:DWORD
	v_fma_f16 v10, v40, v12, -v10
	v_cvt_f32_f16_e32 v10, v10
	v_cvt_f64_f32_e32 v[8:9], v8
	v_mul_f64 v[8:9], v[8:9], s[2:3]
	v_and_or_b32 v5, v9, s6, v8
	v_cmp_ne_u32_e32 vcc, 0, v5
	v_lshrrev_b32_e32 v8, 8, v9
	v_bfe_u32 v13, v9, 20, 11
	v_cndmask_b32_e64 v5, 0, 1, vcc
	v_and_or_b32 v5, v8, s7, v5
	v_sub_u32_e32 v14, 0x3f1, v13
	v_or_b32_e32 v8, 0x1000, v5
	v_med3_i32 v14, v14, 0, 13
	v_lshrrev_b32_e32 v16, v14, v8
	v_lshlrev_b32_e32 v14, v14, v16
	v_cmp_ne_u32_e32 vcc, v14, v8
	v_add_u32_e32 v13, 0xfffffc10, v13
	v_lshl_or_b32 v14, v13, 12, v5
	v_cndmask_b32_e64 v8, 0, 1, vcc
	v_or_b32_e32 v8, v16, v8
	v_cmp_gt_i32_e32 vcc, 1, v13
	s_nop 1
	v_cndmask_b32_e32 v8, v14, v8, vcc
	v_and_b32_e32 v14, 7, v8
	v_cmp_lt_i32_e32 vcc, 5, v14
	v_cmp_eq_u32_e64 s[0:1], 3, v14
	v_lshrrev_b32_e32 v8, 2, v8
	s_or_b64 vcc, s[0:1], vcc
	v_addc_co_u32_e32 v8, vcc, 0, v8, vcc
	v_cmp_gt_i32_e32 vcc, 31, v13
	v_and_b32_sdwa v14, v9, s9 dst_sel:DWORD dst_unused:UNUSED_PAD src0_sel:WORD_1 src1_sel:DWORD
	s_nop 0
	v_cndmask_b32_e32 v8, v2, v8, vcc
	v_cmp_ne_u32_e32 vcc, 0, v5
	s_nop 1
	v_cndmask_b32_e64 v5, 0, 1, vcc
	v_lshl_or_b32 v5, v5, 9, v2
	v_cmp_eq_u32_e32 vcc, s8, v13
	s_nop 1
	v_cndmask_b32_e32 v5, v8, v5, vcc
	v_cvt_f64_f32_e32 v[8:9], v10
	v_mul_f64 v[8:9], v[8:9], s[2:3]
	v_and_or_b32 v8, v9, s6, v8
	v_cmp_ne_u32_e32 vcc, 0, v8
	v_lshrrev_b32_e32 v10, 8, v9
	v_bfe_u32 v12, v9, 20, 11
	v_cndmask_b32_e64 v8, 0, 1, vcc
	v_and_or_b32 v8, v10, s7, v8
	v_sub_u32_e32 v13, 0x3f1, v12
	v_or_b32_e32 v10, 0x1000, v8
	v_med3_i32 v13, v13, 0, 13
	v_lshrrev_b32_e32 v16, v13, v10
	v_lshlrev_b32_e32 v13, v13, v16
	v_cmp_ne_u32_e32 vcc, v13, v10
	v_add_u32_e32 v12, 0xfffffc10, v12
	v_lshl_or_b32 v13, v12, 12, v8
	v_cndmask_b32_e64 v10, 0, 1, vcc
	v_or_b32_e32 v10, v16, v10
	v_cmp_gt_i32_e32 vcc, 1, v12
	v_lshrrev_b32_e32 v9, 16, v9
	v_bitop3_b32 v5, v14, s10, v5 bitop3:0xc8
	v_cndmask_b32_e32 v10, v13, v10, vcc
	v_and_b32_e32 v13, 7, v10
	v_cmp_lt_i32_e32 vcc, 5, v13
	v_cmp_eq_u32_e64 s[0:1], 3, v13
	v_lshrrev_b32_e32 v10, 2, v10
	s_or_b64 vcc, s[0:1], vcc
	v_addc_co_u32_e32 v10, vcc, 0, v10, vcc
	v_cmp_gt_i32_e32 vcc, 31, v12
	s_nop 1
	v_cndmask_b32_e32 v10, v2, v10, vcc
	v_cmp_ne_u32_e32 vcc, 0, v8
	s_nop 1
	v_cndmask_b32_e64 v8, 0, 1, vcc
	v_lshl_or_b32 v8, v8, 9, v2
	v_cmp_eq_u32_e32 vcc, s8, v12
	s_nop 1
	v_cndmask_b32_e32 v8, v10, v8, vcc
	v_and_or_b32 v16, v9, s9, v8
	v_mad_u64_u32 v[8:9], s[0:1], s4, v38, 0
	v_mov_b32_e32 v10, v9
	v_mad_u64_u32 v[12:13], s[0:1], s5, v38, v[10:11]
	v_lshrrev_b32_e32 v10, 16, v11
	v_mov_b32_e32 v9, v12
	v_mul_f16_sdwa v12, v39, v10 dst_sel:DWORD dst_unused:UNUSED_PAD src0_sel:WORD_1 src1_sel:DWORD
	v_fma_f16 v12, v39, v11, v12
	v_cvt_f32_f16_e32 v12, v12
	v_lshl_or_b32 v5, v16, 16, v5
	v_lshl_add_u64 v[0:1], v[8:9], 2, v[0:1]
	global_store_dword v[0:1], v5, off
	v_cvt_f64_f32_e32 v[0:1], v12
	v_mul_f64 v[0:1], v[0:1], s[2:3]
	v_and_or_b32 v0, v1, s6, v0
	v_cmp_ne_u32_e32 vcc, 0, v0
	v_lshrrev_b32_e32 v5, 8, v1
	v_bfe_u32 v8, v1, 20, 11
	v_cndmask_b32_e64 v0, 0, 1, vcc
	v_and_or_b32 v0, v5, s7, v0
	v_sub_u32_e32 v9, 0x3f1, v8
	v_or_b32_e32 v5, 0x1000, v0
	v_med3_i32 v9, v9, 0, 13
	v_lshrrev_b32_e32 v12, v9, v5
	v_lshlrev_b32_e32 v9, v9, v12
	v_cmp_ne_u32_e32 vcc, v9, v5
	v_add_u32_e32 v8, 0xfffffc10, v8
	v_lshl_or_b32 v9, v8, 12, v0
	v_cndmask_b32_e64 v5, 0, 1, vcc
	v_or_b32_e32 v5, v12, v5
	v_cmp_gt_i32_e32 vcc, 1, v8
	s_nop 1
	v_cndmask_b32_e32 v5, v9, v5, vcc
	v_and_b32_e32 v9, 7, v5
	v_cmp_lt_i32_e32 vcc, 5, v9
	v_cmp_eq_u32_e64 s[0:1], 3, v9
	v_lshrrev_b32_e32 v5, 2, v5
	s_or_b64 vcc, s[0:1], vcc
	v_mul_f16_sdwa v9, v39, v11 dst_sel:DWORD dst_unused:UNUSED_PAD src0_sel:WORD_1 src1_sel:DWORD
	v_addc_co_u32_e32 v5, vcc, 0, v5, vcc
	v_fma_f16 v9, v39, v10, -v9
	v_cmp_gt_i32_e32 vcc, 31, v8
	v_cvt_f32_f16_e32 v9, v9
	v_and_b32_sdwa v10, v1, s9 dst_sel:DWORD dst_unused:UNUSED_PAD src0_sel:WORD_1 src1_sel:DWORD
	v_cndmask_b32_e32 v5, v2, v5, vcc
	v_cmp_ne_u32_e32 vcc, 0, v0
	s_nop 1
	v_cndmask_b32_e64 v0, 0, 1, vcc
	v_lshl_or_b32 v0, v0, 9, v2
	v_cmp_eq_u32_e32 vcc, s8, v8
	s_nop 1
	v_cndmask_b32_e32 v5, v5, v0, vcc
	v_cvt_f64_f32_e32 v[0:1], v9
	v_mul_f64 v[0:1], v[0:1], s[2:3]
	v_and_or_b32 v0, v1, s6, v0
	v_cmp_ne_u32_e32 vcc, 0, v0
	v_lshrrev_b32_e32 v8, 8, v1
	v_bfe_u32 v9, v1, 20, 11
	v_cndmask_b32_e64 v0, 0, 1, vcc
	v_and_or_b32 v0, v8, s7, v0
	v_sub_u32_e32 v11, 0x3f1, v9
	v_or_b32_e32 v8, 0x1000, v0
	v_med3_i32 v11, v11, 0, 13
	v_lshrrev_b32_e32 v12, v11, v8
	v_lshlrev_b32_e32 v11, v11, v12
	v_cmp_ne_u32_e32 vcc, v11, v8
	v_add_u32_e32 v9, 0xfffffc10, v9
	v_lshl_or_b32 v11, v9, 12, v0
	v_cndmask_b32_e64 v8, 0, 1, vcc
	v_or_b32_e32 v8, v12, v8
	v_cmp_gt_i32_e32 vcc, 1, v9
	v_lshrrev_b32_e32 v1, 16, v1
	s_nop 0
	v_cndmask_b32_e32 v8, v11, v8, vcc
	v_and_b32_e32 v11, 7, v8
	v_cmp_lt_i32_e32 vcc, 5, v11
	v_cmp_eq_u32_e64 s[0:1], 3, v11
	v_lshrrev_b32_e32 v8, 2, v8
	s_or_b64 vcc, s[0:1], vcc
	v_addc_co_u32_e32 v8, vcc, 0, v8, vcc
	v_cmp_gt_i32_e32 vcc, 31, v9
	s_nop 1
	v_cndmask_b32_e32 v8, v2, v8, vcc
	v_cmp_ne_u32_e32 vcc, 0, v0
	s_nop 1
	v_cndmask_b32_e64 v0, 0, 1, vcc
	v_lshl_or_b32 v0, v0, 9, v2
	v_cmp_eq_u32_e32 vcc, s8, v9
	s_nop 1
	v_cndmask_b32_e32 v0, v8, v0, vcc
	ds_read2_b32 v[8:9], v15 offset0:160 offset1:208
	v_and_or_b32 v0, v1, s9, v0
	v_bitop3_b32 v1, v10, s10, v5 bitop3:0xc8
	v_lshl_or_b32 v5, v0, 16, v1
	s_waitcnt lgkmcnt(0)
	v_lshrrev_b32_e32 v10, 16, v8
	v_mul_f16_sdwa v0, v21, v10 dst_sel:DWORD dst_unused:UNUSED_PAD src0_sel:WORD_1 src1_sel:DWORD
	v_fma_f16 v0, v21, v8, v0
	v_cvt_f32_f16_e32 v11, v0
	v_mad_u64_u32 v[0:1], s[0:1], s4, v4, v[6:7]
	v_add_u32_e32 v1, s12, v1
	global_store_dword v[0:1], v5, off
	v_cvt_f64_f32_e32 v[4:5], v11
	v_mul_f64 v[4:5], v[4:5], s[2:3]
	v_and_or_b32 v4, v5, s6, v4
	v_cmp_ne_u32_e32 vcc, 0, v4
	v_lshrrev_b32_e32 v6, 8, v5
	v_bfe_u32 v7, v5, 20, 11
	v_cndmask_b32_e64 v4, 0, 1, vcc
	v_and_or_b32 v4, v6, s7, v4
	v_sub_u32_e32 v11, 0x3f1, v7
	v_or_b32_e32 v6, 0x1000, v4
	v_med3_i32 v11, v11, 0, 13
	v_lshrrev_b32_e32 v12, v11, v6
	v_lshlrev_b32_e32 v11, v11, v12
	v_cmp_ne_u32_e32 vcc, v11, v6
	v_add_u32_e32 v7, 0xfffffc10, v7
	v_lshl_or_b32 v11, v7, 12, v4
	v_cndmask_b32_e64 v6, 0, 1, vcc
	v_or_b32_e32 v6, v12, v6
	v_cmp_gt_i32_e32 vcc, 1, v7
	v_mul_f16_sdwa v8, v21, v8 dst_sel:DWORD dst_unused:UNUSED_PAD src0_sel:WORD_1 src1_sel:DWORD
	v_fma_f16 v8, v21, v10, -v8
	v_cndmask_b32_e32 v6, v11, v6, vcc
	v_and_b32_e32 v11, 7, v6
	v_cmp_lt_i32_e32 vcc, 5, v11
	v_cmp_eq_u32_e64 s[0:1], 3, v11
	v_lshrrev_b32_e32 v6, 2, v6
	s_or_b64 vcc, s[0:1], vcc
	v_addc_co_u32_e32 v6, vcc, 0, v6, vcc
	v_cmp_gt_i32_e32 vcc, 31, v7
	v_cvt_f32_f16_e32 v8, v8
	s_nop 0
	v_cndmask_b32_e32 v6, v2, v6, vcc
	v_cmp_ne_u32_e32 vcc, 0, v4
	s_nop 1
	v_cndmask_b32_e64 v4, 0, 1, vcc
	v_lshl_or_b32 v4, v4, 9, v2
	v_cmp_eq_u32_e32 vcc, s8, v7
	v_and_b32_sdwa v7, v5, s9 dst_sel:DWORD dst_unused:UNUSED_PAD src0_sel:WORD_1 src1_sel:DWORD
	s_nop 0
	v_cndmask_b32_e32 v6, v6, v4, vcc
	v_cvt_f64_f32_e32 v[4:5], v8
	v_mul_f64 v[4:5], v[4:5], s[2:3]
	v_and_or_b32 v4, v5, s6, v4
	v_cmp_ne_u32_e32 vcc, 0, v4
	v_lshrrev_b32_e32 v8, 8, v5
	v_bfe_u32 v10, v5, 20, 11
	v_cndmask_b32_e64 v4, 0, 1, vcc
	v_and_or_b32 v4, v8, s7, v4
	v_sub_u32_e32 v11, 0x3f1, v10
	v_or_b32_e32 v8, 0x1000, v4
	v_med3_i32 v11, v11, 0, 13
	v_lshrrev_b32_e32 v12, v11, v8
	v_lshlrev_b32_e32 v11, v11, v12
	v_cmp_ne_u32_e32 vcc, v11, v8
	v_add_u32_e32 v10, 0xfffffc10, v10
	v_lshl_or_b32 v11, v10, 12, v4
	v_cndmask_b32_e64 v8, 0, 1, vcc
	v_or_b32_e32 v8, v12, v8
	v_cmp_gt_i32_e32 vcc, 1, v10
	v_lshrrev_b32_e32 v5, 16, v5
	s_nop 0
	v_cndmask_b32_e32 v8, v11, v8, vcc
	v_and_b32_e32 v11, 7, v8
	v_cmp_lt_i32_e32 vcc, 5, v11
	v_cmp_eq_u32_e64 s[0:1], 3, v11
	v_lshrrev_b32_e32 v8, 2, v8
	s_or_b64 vcc, s[0:1], vcc
	v_addc_co_u32_e32 v8, vcc, 0, v8, vcc
	v_cmp_gt_i32_e32 vcc, 31, v10
	v_mad_u64_u32 v[0:1], s[0:1], s4, v3, v[0:1]
	s_nop 0
	v_cndmask_b32_e32 v8, v2, v8, vcc
	v_cmp_ne_u32_e32 vcc, 0, v4
	v_add_u32_e32 v1, s11, v1
	s_nop 0
	v_cndmask_b32_e64 v4, 0, 1, vcc
	v_lshl_or_b32 v4, v4, 9, v2
	v_cmp_eq_u32_e32 vcc, s8, v10
	s_nop 1
	v_cndmask_b32_e32 v4, v8, v4, vcc
	v_and_or_b32 v4, v5, s9, v4
	v_bitop3_b32 v5, v7, s10, v6 bitop3:0xc8
	v_lshrrev_b32_e32 v6, 16, v9
	v_lshl_or_b32 v4, v4, 16, v5
	v_mul_f16_sdwa v5, v19, v6 dst_sel:DWORD dst_unused:UNUSED_PAD src0_sel:WORD_1 src1_sel:DWORD
	v_fma_f16 v5, v19, v9, v5
	v_cvt_f32_f16_e32 v5, v5
	global_store_dword v[0:1], v4, off
	v_mul_f16_sdwa v9, v19, v9 dst_sel:DWORD dst_unused:UNUSED_PAD src0_sel:WORD_1 src1_sel:DWORD
	v_fma_f16 v6, v19, v6, -v9
	v_cvt_f64_f32_e32 v[4:5], v5
	v_mul_f64 v[4:5], v[4:5], s[2:3]
	v_and_or_b32 v4, v5, s6, v4
	v_cmp_ne_u32_e32 vcc, 0, v4
	v_lshrrev_b32_e32 v7, 8, v5
	v_bfe_u32 v8, v5, 20, 11
	v_cndmask_b32_e64 v4, 0, 1, vcc
	v_and_or_b32 v4, v7, s7, v4
	v_sub_u32_e32 v10, 0x3f1, v8
	v_or_b32_e32 v7, 0x1000, v4
	v_med3_i32 v10, v10, 0, 13
	v_lshrrev_b32_e32 v11, v10, v7
	v_lshlrev_b32_e32 v10, v10, v11
	v_cmp_ne_u32_e32 vcc, v10, v7
	v_add_u32_e32 v8, 0xfffffc10, v8
	v_lshl_or_b32 v10, v8, 12, v4
	v_cndmask_b32_e64 v7, 0, 1, vcc
	v_or_b32_e32 v7, v11, v7
	v_cmp_gt_i32_e32 vcc, 1, v8
	v_cvt_f32_f16_e32 v6, v6
	s_nop 0
	v_cndmask_b32_e32 v7, v10, v7, vcc
	v_and_b32_e32 v10, 7, v7
	v_cmp_lt_i32_e32 vcc, 5, v10
	v_cmp_eq_u32_e64 s[0:1], 3, v10
	v_lshrrev_b32_e32 v7, 2, v7
	s_or_b64 vcc, s[0:1], vcc
	v_addc_co_u32_e32 v7, vcc, 0, v7, vcc
	v_cmp_gt_i32_e32 vcc, 31, v8
	s_nop 1
	v_cndmask_b32_e32 v7, v2, v7, vcc
	v_cmp_ne_u32_e32 vcc, 0, v4
	s_nop 1
	v_cndmask_b32_e64 v4, 0, 1, vcc
	v_lshl_or_b32 v4, v4, 9, v2
	v_cmp_eq_u32_e32 vcc, s8, v8
	v_and_b32_sdwa v8, v5, s9 dst_sel:DWORD dst_unused:UNUSED_PAD src0_sel:WORD_1 src1_sel:DWORD
	s_nop 0
	v_cndmask_b32_e32 v7, v7, v4, vcc
	v_cvt_f64_f32_e32 v[4:5], v6
	v_mul_f64 v[4:5], v[4:5], s[2:3]
	v_and_or_b32 v4, v5, s6, v4
	v_cmp_ne_u32_e32 vcc, 0, v4
	v_lshrrev_b32_e32 v6, 8, v5
	v_bfe_u32 v9, v5, 20, 11
	v_cndmask_b32_e64 v4, 0, 1, vcc
	v_and_or_b32 v4, v6, s7, v4
	v_sub_u32_e32 v10, 0x3f1, v9
	v_or_b32_e32 v6, 0x1000, v4
	v_med3_i32 v10, v10, 0, 13
	v_lshrrev_b32_e32 v11, v10, v6
	v_lshlrev_b32_e32 v10, v10, v11
	v_cmp_ne_u32_e32 vcc, v10, v6
	v_add_u32_e32 v9, 0xfffffc10, v9
	v_lshl_or_b32 v10, v9, 12, v4
	v_cndmask_b32_e64 v6, 0, 1, vcc
	v_or_b32_e32 v6, v11, v6
	v_cmp_gt_i32_e32 vcc, 1, v9
	s_nop 1
	v_cndmask_b32_e32 v6, v10, v6, vcc
	v_and_b32_e32 v10, 7, v6
	v_cmp_lt_i32_e32 vcc, 5, v10
	v_cmp_eq_u32_e64 s[0:1], 3, v10
	v_lshrrev_b32_e32 v6, 2, v6
	s_or_b64 vcc, s[0:1], vcc
	v_addc_co_u32_e32 v6, vcc, 0, v6, vcc
	v_cmp_gt_i32_e32 vcc, 31, v9
	v_mad_u64_u32 v[0:1], s[0:1], s4, v3, v[0:1]
	s_nop 0
	v_cndmask_b32_e32 v6, v2, v6, vcc
	v_cmp_ne_u32_e32 vcc, 0, v4
	v_add_u32_e32 v1, s11, v1
	s_nop 0
	v_cndmask_b32_e64 v4, 0, 1, vcc
	v_lshl_or_b32 v2, v4, 9, v2
	v_cmp_eq_u32_e32 vcc, s8, v9
	v_lshrrev_b32_e32 v4, 16, v5
	s_nop 0
	v_cndmask_b32_e32 v2, v6, v2, vcc
	v_and_or_b32 v2, v4, s9, v2
	v_bitop3_b32 v4, v8, s10, v7 bitop3:0xc8
	v_lshl_or_b32 v2, v2, 16, v4
	global_store_dword v[0:1], v2, off
.LBB0_10:
	s_endpgm
	.section	.rodata,"a",@progbits
	.p2align	6, 0x0
	.amdhsa_kernel bluestein_single_fwd_len768_dim1_half_op_CI_CI
		.amdhsa_group_segment_fixed_size 3072
		.amdhsa_private_segment_fixed_size 0
		.amdhsa_kernarg_size 104
		.amdhsa_user_sgpr_count 2
		.amdhsa_user_sgpr_dispatch_ptr 0
		.amdhsa_user_sgpr_queue_ptr 0
		.amdhsa_user_sgpr_kernarg_segment_ptr 1
		.amdhsa_user_sgpr_dispatch_id 0
		.amdhsa_user_sgpr_kernarg_preload_length 0
		.amdhsa_user_sgpr_kernarg_preload_offset 0
		.amdhsa_user_sgpr_private_segment_size 0
		.amdhsa_uses_dynamic_stack 0
		.amdhsa_enable_private_segment 0
		.amdhsa_system_sgpr_workgroup_id_x 1
		.amdhsa_system_sgpr_workgroup_id_y 0
		.amdhsa_system_sgpr_workgroup_id_z 0
		.amdhsa_system_sgpr_workgroup_info 0
		.amdhsa_system_vgpr_workitem_id 0
		.amdhsa_next_free_vgpr 114
		.amdhsa_next_free_sgpr 16
		.amdhsa_accum_offset 116
		.amdhsa_reserve_vcc 1
		.amdhsa_float_round_mode_32 0
		.amdhsa_float_round_mode_16_64 0
		.amdhsa_float_denorm_mode_32 3
		.amdhsa_float_denorm_mode_16_64 3
		.amdhsa_dx10_clamp 1
		.amdhsa_ieee_mode 1
		.amdhsa_fp16_overflow 0
		.amdhsa_tg_split 0
		.amdhsa_exception_fp_ieee_invalid_op 0
		.amdhsa_exception_fp_denorm_src 0
		.amdhsa_exception_fp_ieee_div_zero 0
		.amdhsa_exception_fp_ieee_overflow 0
		.amdhsa_exception_fp_ieee_underflow 0
		.amdhsa_exception_fp_ieee_inexact 0
		.amdhsa_exception_int_div_zero 0
	.end_amdhsa_kernel
	.text
.Lfunc_end0:
	.size	bluestein_single_fwd_len768_dim1_half_op_CI_CI, .Lfunc_end0-bluestein_single_fwd_len768_dim1_half_op_CI_CI
                                        ; -- End function
	.section	.AMDGPU.csdata,"",@progbits
; Kernel info:
; codeLenInByte = 20156
; NumSgprs: 22
; NumVgprs: 114
; NumAgprs: 0
; TotalNumVgprs: 114
; ScratchSize: 0
; MemoryBound: 0
; FloatMode: 240
; IeeeMode: 1
; LDSByteSize: 3072 bytes/workgroup (compile time only)
; SGPRBlocks: 2
; VGPRBlocks: 14
; NumSGPRsForWavesPerEU: 22
; NumVGPRsForWavesPerEU: 114
; AccumOffset: 116
; Occupancy: 4
; WaveLimiterHint : 1
; COMPUTE_PGM_RSRC2:SCRATCH_EN: 0
; COMPUTE_PGM_RSRC2:USER_SGPR: 2
; COMPUTE_PGM_RSRC2:TRAP_HANDLER: 0
; COMPUTE_PGM_RSRC2:TGID_X_EN: 1
; COMPUTE_PGM_RSRC2:TGID_Y_EN: 0
; COMPUTE_PGM_RSRC2:TGID_Z_EN: 0
; COMPUTE_PGM_RSRC2:TIDIG_COMP_CNT: 0
; COMPUTE_PGM_RSRC3_GFX90A:ACCUM_OFFSET: 28
; COMPUTE_PGM_RSRC3_GFX90A:TG_SPLIT: 0
	.text
	.p2alignl 6, 3212836864
	.fill 256, 4, 3212836864
	.type	__hip_cuid_3f33c7ac5081414b,@object ; @__hip_cuid_3f33c7ac5081414b
	.section	.bss,"aw",@nobits
	.globl	__hip_cuid_3f33c7ac5081414b
__hip_cuid_3f33c7ac5081414b:
	.byte	0                               ; 0x0
	.size	__hip_cuid_3f33c7ac5081414b, 1

	.ident	"AMD clang version 19.0.0git (https://github.com/RadeonOpenCompute/llvm-project roc-6.4.0 25133 c7fe45cf4b819c5991fe208aaa96edf142730f1d)"
	.section	".note.GNU-stack","",@progbits
	.addrsig
	.addrsig_sym __hip_cuid_3f33c7ac5081414b
	.amdgpu_metadata
---
amdhsa.kernels:
  - .agpr_count:     0
    .args:
      - .actual_access:  read_only
        .address_space:  global
        .offset:         0
        .size:           8
        .value_kind:     global_buffer
      - .actual_access:  read_only
        .address_space:  global
        .offset:         8
        .size:           8
        .value_kind:     global_buffer
      - .actual_access:  read_only
        .address_space:  global
        .offset:         16
        .size:           8
        .value_kind:     global_buffer
      - .actual_access:  read_only
        .address_space:  global
        .offset:         24
        .size:           8
        .value_kind:     global_buffer
      - .actual_access:  read_only
        .address_space:  global
        .offset:         32
        .size:           8
        .value_kind:     global_buffer
      - .offset:         40
        .size:           8
        .value_kind:     by_value
      - .address_space:  global
        .offset:         48
        .size:           8
        .value_kind:     global_buffer
      - .address_space:  global
        .offset:         56
        .size:           8
        .value_kind:     global_buffer
      - .address_space:  global
        .offset:         64
        .size:           8
        .value_kind:     global_buffer
      - .address_space:  global
        .offset:         72
        .size:           8
        .value_kind:     global_buffer
      - .offset:         80
        .size:           4
        .value_kind:     by_value
      - .address_space:  global
        .offset:         88
        .size:           8
        .value_kind:     global_buffer
      - .address_space:  global
        .offset:         96
        .size:           8
        .value_kind:     global_buffer
    .group_segment_fixed_size: 3072
    .kernarg_segment_align: 8
    .kernarg_segment_size: 104
    .language:       OpenCL C
    .language_version:
      - 2
      - 0
    .max_flat_workgroup_size: 48
    .name:           bluestein_single_fwd_len768_dim1_half_op_CI_CI
    .private_segment_fixed_size: 0
    .sgpr_count:     22
    .sgpr_spill_count: 0
    .symbol:         bluestein_single_fwd_len768_dim1_half_op_CI_CI.kd
    .uniform_work_group_size: 1
    .uses_dynamic_stack: false
    .vgpr_count:     114
    .vgpr_spill_count: 0
    .wavefront_size: 64
amdhsa.target:   amdgcn-amd-amdhsa--gfx950
amdhsa.version:
  - 1
  - 2
...

	.end_amdgpu_metadata
